;; amdgpu-corpus repo=ROCm/rocFFT kind=compiled arch=gfx906 opt=O3
	.text
	.amdgcn_target "amdgcn-amd-amdhsa--gfx906"
	.amdhsa_code_object_version 6
	.protected	bluestein_single_back_len104_dim1_dp_op_CI_CI ; -- Begin function bluestein_single_back_len104_dim1_dp_op_CI_CI
	.globl	bluestein_single_back_len104_dim1_dp_op_CI_CI
	.p2align	8
	.type	bluestein_single_back_len104_dim1_dp_op_CI_CI,@function
bluestein_single_back_len104_dim1_dp_op_CI_CI: ; @bluestein_single_back_len104_dim1_dp_op_CI_CI
; %bb.0:
	s_load_dwordx4 s[16:19], s[4:5], 0x28
	v_lshrrev_b32_e32 v52, 3, v0
	v_mov_b32_e32 v73, 0
	v_lshl_or_b32 v172, s6, 3, v52
	v_mov_b32_e32 v173, v73
	s_waitcnt lgkmcnt(0)
	v_cmp_gt_u64_e32 vcc, s[16:17], v[172:173]
	s_and_saveexec_b64 s[0:1], vcc
	s_cbranch_execz .LBB0_10
; %bb.1:
	s_load_dwordx4 s[0:3], s[4:5], 0x18
	s_load_dwordx4 s[12:15], s[4:5], 0x0
	v_and_b32_e32 v175, 7, v0
	v_lshlrev_b32_e32 v178, 4, v175
	v_mul_u32_u24_e32 v180, 0x68, v52
	s_waitcnt lgkmcnt(0)
	s_load_dwordx4 s[8:11], s[0:1], 0x0
	v_lshl_or_b32 v176, v180, 4, v178
	s_mov_b32 s6, 0xe00740e9
	s_mov_b32 s7, 0x3fec55a7
	s_mov_b32 s26, 0x42a4c3d2
	s_waitcnt lgkmcnt(0)
	v_mad_u64_u32 v[0:1], s[0:1], s10, v172, 0
	v_mad_u64_u32 v[2:3], s[0:1], s8, v175, 0
	s_mov_b32 s36, 0x66966769
	s_mov_b32 s20, 0x2ef20147
	v_mad_u64_u32 v[4:5], s[0:1], s11, v172, v[1:2]
	s_mov_b32 s24, 0x24c2f84
	s_mov_b32 s34, 0x4bc48dbf
	v_mad_u64_u32 v[5:6], s[0:1], s9, v175, v[3:4]
	v_mov_b32_e32 v1, v4
	v_lshlrev_b64 v[0:1], 4, v[0:1]
	v_mov_b32_e32 v3, v5
	v_mov_b32_e32 v6, s19
	v_lshlrev_b64 v[2:3], 4, v[2:3]
	v_add_co_u32_e32 v0, vcc, s18, v0
	v_addc_co_u32_e32 v1, vcc, v6, v1, vcc
	v_add_co_u32_e32 v0, vcc, v0, v2
	v_addc_co_u32_e32 v1, vcc, v1, v3, vcc
	global_load_dwordx4 v[53:56], v[0:1], off
	s_lshl_b64 s[0:1], s[8:9], 7
	v_mov_b32_e32 v18, s1
	v_add_co_u32_e32 v0, vcc, s0, v0
	global_load_dwordx4 v[32:35], v178, s[12:13]
	global_load_dwordx4 v[24:27], v178, s[12:13] offset:128
	v_addc_co_u32_e32 v1, vcc, v1, v18, vcc
	v_add_co_u32_e32 v2, vcc, s0, v0
	v_addc_co_u32_e32 v3, vcc, v1, v18, vcc
	global_load_dwordx4 v[57:60], v[0:1], off
	global_load_dwordx4 v[61:64], v[2:3], off
	v_add_co_u32_e32 v0, vcc, s0, v2
	v_addc_co_u32_e32 v1, vcc, v3, v18, vcc
	v_add_co_u32_e32 v2, vcc, s0, v0
	v_addc_co_u32_e32 v3, vcc, v1, v18, vcc
	global_load_dwordx4 v[44:47], v178, s[12:13] offset:256
	global_load_dwordx4 v[28:31], v178, s[12:13] offset:384
	global_load_dwordx4 v[65:68], v[0:1], off
	global_load_dwordx4 v[69:72], v[2:3], off
	v_add_co_u32_e32 v0, vcc, s0, v2
	v_addc_co_u32_e32 v1, vcc, v3, v18, vcc
	global_load_dwordx4 v[74:77], v[0:1], off
	global_load_dwordx4 v[48:51], v178, s[12:13] offset:512
	global_load_dwordx4 v[20:23], v178, s[12:13] offset:640
	v_add_co_u32_e32 v0, vcc, s0, v0
	v_addc_co_u32_e32 v1, vcc, v1, v18, vcc
	global_load_dwordx4 v[78:81], v[0:1], off
	v_add_co_u32_e32 v0, vcc, s0, v0
	v_addc_co_u32_e32 v1, vcc, v1, v18, vcc
	global_load_dwordx4 v[82:85], v[0:1], off
	global_load_dwordx4 v[40:43], v178, s[12:13] offset:768
	global_load_dwordx4 v[12:15], v178, s[12:13] offset:896
	v_add_co_u32_e32 v0, vcc, s0, v0
	v_addc_co_u32_e32 v1, vcc, v1, v18, vcc
	;; [unrolled: 8-line block ×3, first 2 shown]
	v_add_co_u32_e32 v16, vcc, s0, v0
	global_load_dwordx4 v[94:97], v[0:1], off
	v_addc_co_u32_e32 v17, vcc, v1, v18, vcc
	global_load_dwordx4 v[98:101], v[16:17], off
	global_load_dwordx4 v[8:11], v178, s[12:13] offset:1280
	global_load_dwordx4 v[0:3], v178, s[12:13] offset:1408
	v_add_co_u32_e32 v106, vcc, s0, v16
	v_addc_co_u32_e32 v107, vcc, v17, v18, vcc
	global_load_dwordx4 v[16:19], v178, s[12:13] offset:1536
	global_load_dwordx4 v[102:105], v[106:107], off
	s_load_dwordx4 s[8:11], s[2:3], 0x0
	s_mov_b32 s19, 0xbfddbe06
	s_mov_b32 s18, 0x4267c47c
	s_mov_b32 s27, 0xbfea55e2
	s_mov_b32 s37, 0xbfefc445
	s_mov_b32 s21, 0xbfedeba7
	s_mov_b32 s25, 0xbfe5384d
	s_mov_b32 s35, 0xbfcea1e5
	s_load_dwordx2 s[2:3], s[4:5], 0x38
	s_mov_b32 s4, 0x1ea71119
	s_mov_b32 s0, 0xebaa3ed8
	;; [unrolled: 1-line block ×12, first 2 shown]
	s_waitcnt vmcnt(24)
	v_mul_f64 v[106:107], v[55:56], v[34:35]
	v_mul_f64 v[108:109], v[53:54], v[34:35]
	s_mov_b32 s29, 0x3fefc445
	s_mov_b32 s28, s36
	s_mov_b32 s41, 0x3fedeba7
	s_mov_b32 s40, s20
                                        ; implicit-def: $vgpr168_vgpr169
	s_waitcnt vmcnt(22)
	v_mul_f64 v[110:111], v[59:60], v[26:27]
	v_mul_f64 v[112:113], v[57:58], v[26:27]
	v_fma_f64 v[52:53], v[53:54], v[32:33], v[106:107]
	v_fma_f64 v[54:55], v[55:56], v[32:33], -v[108:109]
	v_fma_f64 v[56:57], v[57:58], v[24:25], v[110:111]
	s_waitcnt vmcnt(20)
	v_mul_f64 v[114:115], v[63:64], v[46:47]
	v_mul_f64 v[106:107], v[61:62], v[46:47]
	s_waitcnt vmcnt(18)
	v_mul_f64 v[108:109], v[67:68], v[30:31]
	v_mul_f64 v[116:117], v[65:66], v[30:31]
	v_fma_f64 v[58:59], v[59:60], v[24:25], -v[112:113]
	s_waitcnt vmcnt(15)
	v_mul_f64 v[118:119], v[71:72], v[50:51]
	v_mul_f64 v[120:121], v[69:70], v[50:51]
	v_fma_f64 v[60:61], v[61:62], v[44:45], v[114:115]
	v_fma_f64 v[62:63], v[63:64], v[44:45], -v[106:107]
	v_fma_f64 v[64:65], v[65:66], v[28:29], v[108:109]
	v_fma_f64 v[66:67], v[67:68], v[28:29], -v[116:117]
	;; [unrolled: 2-line block ×3, first 2 shown]
	v_or_b32_e32 v72, v180, v175
	v_lshlrev_b32_e32 v177, 4, v72
	ds_write_b128 v177, v[52:55]
	s_waitcnt vmcnt(14)
	v_mul_f64 v[52:53], v[76:77], v[22:23]
	v_mul_f64 v[54:55], v[74:75], v[22:23]
	ds_write_b128 v176, v[56:59] offset:128
	ds_write_b128 v176, v[60:63] offset:256
	;; [unrolled: 1-line block ×4, first 2 shown]
	s_waitcnt vmcnt(11)
	v_mul_f64 v[56:57], v[80:81], v[42:43]
	v_mul_f64 v[58:59], v[78:79], v[42:43]
	s_waitcnt vmcnt(10)
	v_mul_f64 v[60:61], v[84:85], v[14:15]
	v_mul_f64 v[62:63], v[82:83], v[14:15]
	s_waitcnt vmcnt(7)
	v_mul_f64 v[64:65], v[88:89], v[38:39]
	v_mul_f64 v[66:67], v[86:87], v[38:39]
	s_waitcnt vmcnt(6)
	v_mul_f64 v[68:69], v[92:93], v[6:7]
	v_mul_f64 v[70:71], v[90:91], v[6:7]
	v_fma_f64 v[52:53], v[74:75], v[20:21], v[52:53]
	v_fma_f64 v[54:55], v[76:77], v[20:21], -v[54:55]
	v_fma_f64 v[56:57], v[78:79], v[40:41], v[56:57]
	v_fma_f64 v[58:59], v[80:81], v[40:41], -v[58:59]
	;; [unrolled: 2-line block ×3, first 2 shown]
	s_waitcnt vmcnt(3)
	v_mul_f64 v[74:75], v[96:97], v[10:11]
	v_mul_f64 v[76:77], v[94:95], v[10:11]
	s_waitcnt vmcnt(2)
	v_mul_f64 v[78:79], v[100:101], v[2:3]
	v_mul_f64 v[80:81], v[98:99], v[2:3]
	v_fma_f64 v[64:65], v[86:87], v[36:37], v[64:65]
	v_fma_f64 v[66:67], v[88:89], v[36:37], -v[66:67]
	s_waitcnt vmcnt(0)
	v_mul_f64 v[82:83], v[104:105], v[18:19]
	v_mul_f64 v[84:85], v[102:103], v[18:19]
	v_fma_f64 v[68:69], v[90:91], v[4:5], v[68:69]
	v_fma_f64 v[70:71], v[92:93], v[4:5], -v[70:71]
	v_fma_f64 v[74:75], v[94:95], v[8:9], v[74:75]
	v_fma_f64 v[76:77], v[96:97], v[8:9], -v[76:77]
	;; [unrolled: 2-line block ×4, first 2 shown]
	ds_write_b128 v176, v[52:55] offset:640
	ds_write_b128 v176, v[56:59] offset:768
	;; [unrolled: 1-line block ×8, first 2 shown]
	s_waitcnt lgkmcnt(0)
	; wave barrier
	s_waitcnt lgkmcnt(0)
	ds_read_b128 v[75:78], v177
	ds_read_b128 v[52:55], v176 offset:128
	ds_read_b128 v[79:82], v176 offset:256
	;; [unrolled: 1-line block ×5, first 2 shown]
	v_or_b32_e32 v72, 8, v175
	v_mov_b32_e32 v74, s13
	s_waitcnt lgkmcnt(4)
	v_add_f64 v[56:57], v[75:76], v[52:53]
	v_add_f64 v[58:59], v[77:78], v[54:55]
	v_cmp_gt_u64_e32 vcc, 13, v[72:73]
	s_waitcnt lgkmcnt(3)
	v_add_f64 v[56:57], v[56:57], v[79:80]
	v_add_f64 v[58:59], v[58:59], v[81:82]
	s_waitcnt lgkmcnt(2)
	v_add_f64 v[56:57], v[56:57], v[83:84]
	v_add_f64 v[58:59], v[58:59], v[85:86]
	;; [unrolled: 3-line block ×4, first 2 shown]
	ds_read_b128 v[56:59], v176 offset:768
	ds_read_b128 v[60:63], v176 offset:896
	s_waitcnt lgkmcnt(1)
	v_add_f64 v[68:69], v[68:69], v[56:57]
	v_add_f64 v[70:71], v[70:71], v[58:59]
	s_waitcnt lgkmcnt(0)
	v_add_f64 v[95:96], v[68:69], v[60:61]
	v_add_f64 v[97:98], v[70:71], v[62:63]
	ds_read_b128 v[68:71], v176 offset:1024
	ds_read_b128 v[91:94], v176 offset:1152
	s_waitcnt lgkmcnt(1)
	v_add_f64 v[99:100], v[95:96], v[68:69]
	v_add_f64 v[101:102], v[97:98], v[70:71]
	ds_read_b128 v[95:98], v176 offset:1536
	s_waitcnt lgkmcnt(0)
	v_add_f64 v[111:112], v[54:55], -v[97:98]
	v_add_f64 v[107:108], v[99:100], v[91:92]
	v_add_f64 v[109:110], v[101:102], v[93:94]
	v_add_f64 v[113:114], v[52:53], -v[95:96]
	ds_read_b128 v[99:102], v176 offset:1280
	ds_read_b128 v[103:106], v176 offset:1408
	v_add_f64 v[115:116], v[52:53], v[95:96]
	v_add_f64 v[117:118], v[54:55], v[97:98]
	s_waitcnt lgkmcnt(0)
	v_mul_f64 v[119:120], v[111:112], s[18:19]
	v_add_f64 v[107:108], v[107:108], v[99:100]
	v_add_f64 v[109:110], v[109:110], v[101:102]
	v_mul_f64 v[121:122], v[113:114], s[18:19]
	v_mul_f64 v[123:124], v[111:112], s[36:37]
	;; [unrolled: 1-line block ×6, first 2 shown]
	v_add_f64 v[52:53], v[107:108], v[103:104]
	v_add_f64 v[54:55], v[109:110], v[105:106]
	v_fma_f64 v[107:108], v[115:116], s[6:7], -v[119:120]
	v_fma_f64 v[109:110], v[117:118], s[6:7], v[121:122]
	v_mul_f64 v[141:142], v[113:114], s[24:25]
	v_add_f64 v[151:152], v[81:82], -v[105:106]
	v_add_f64 v[153:154], v[79:80], -v[103:104]
	v_fma_f64 v[131:132], v[115:116], s[0:1], -v[123:124]
	v_add_f64 v[52:53], v[52:53], v[95:96]
	v_add_f64 v[54:55], v[54:55], v[97:98]
	v_add_f64 v[95:96], v[75:76], v[107:108]
	v_add_f64 v[97:98], v[77:78], v[109:110]
	v_fma_f64 v[107:108], v[115:116], s[6:7], v[119:120]
	v_fma_f64 v[109:110], v[117:118], s[6:7], -v[121:122]
	v_mul_f64 v[119:120], v[111:112], s[26:27]
	v_mul_f64 v[121:122], v[113:114], s[26:27]
	;; [unrolled: 1-line block ×4, first 2 shown]
	v_fma_f64 v[133:134], v[117:118], s[0:1], v[125:126]
	v_fma_f64 v[123:124], v[115:116], s[0:1], v[123:124]
	v_fma_f64 v[125:126], v[117:118], s[0:1], -v[125:126]
	v_fma_f64 v[143:144], v[115:116], s[16:17], -v[135:136]
	;; [unrolled: 1-line block ×3, first 2 shown]
	v_fma_f64 v[129:130], v[117:118], s[4:5], v[121:122]
	v_fma_f64 v[119:120], v[115:116], s[4:5], v[119:120]
	v_fma_f64 v[121:122], v[117:118], s[4:5], -v[121:122]
	v_fma_f64 v[145:146], v[117:118], s[16:17], v[137:138]
	v_fma_f64 v[135:136], v[115:116], s[16:17], v[135:136]
	v_fma_f64 v[137:138], v[117:118], s[16:17], -v[137:138]
	v_fma_f64 v[147:148], v[115:116], s[22:23], -v[139:140]
	v_fma_f64 v[149:150], v[117:118], s[22:23], v[141:142]
	v_fma_f64 v[139:140], v[115:116], s[22:23], v[139:140]
	v_fma_f64 v[141:142], v[117:118], s[22:23], -v[141:142]
	v_add_f64 v[79:80], v[79:80], v[103:104]
	v_add_f64 v[81:82], v[81:82], v[105:106]
	v_mul_f64 v[103:104], v[151:152], s[26:27]
	v_mul_f64 v[105:106], v[153:154], s[26:27]
	v_fma_f64 v[155:156], v[115:116], s[30:31], -v[111:112]
	v_fma_f64 v[157:158], v[117:118], s[30:31], v[113:114]
	v_fma_f64 v[111:112], v[115:116], s[30:31], v[111:112]
	v_fma_f64 v[113:114], v[117:118], s[30:31], -v[113:114]
	v_add_f64 v[107:108], v[75:76], v[107:108]
	v_add_f64 v[109:110], v[77:78], v[109:110]
	;; [unrolled: 1-line block ×18, first 2 shown]
	v_fma_f64 v[139:140], v[79:80], s[4:5], -v[103:104]
	v_fma_f64 v[141:142], v[81:82], s[4:5], v[105:106]
	v_add_f64 v[155:156], v[75:76], v[155:156]
	v_add_f64 v[157:158], v[77:78], v[157:158]
	;; [unrolled: 1-line block ×4, first 2 shown]
	v_mul_f64 v[111:112], v[151:152], s[20:21]
	v_mul_f64 v[113:114], v[153:154], s[20:21]
	v_add_f64 v[95:96], v[139:140], v[95:96]
	v_add_f64 v[97:98], v[141:142], v[97:98]
	v_mul_f64 v[139:140], v[151:152], s[34:35]
	v_mul_f64 v[141:142], v[153:154], s[34:35]
	v_fma_f64 v[103:104], v[79:80], s[4:5], v[103:104]
	v_fma_f64 v[105:106], v[81:82], s[4:5], -v[105:106]
	v_fma_f64 v[159:160], v[79:80], s[16:17], -v[111:112]
	v_fma_f64 v[161:162], v[81:82], s[16:17], v[113:114]
	v_fma_f64 v[111:112], v[79:80], s[16:17], v[111:112]
	v_fma_f64 v[113:114], v[81:82], s[16:17], -v[113:114]
	v_fma_f64 v[163:164], v[79:80], s[30:31], -v[139:140]
	v_fma_f64 v[165:166], v[81:82], s[30:31], v[141:142]
	v_add_f64 v[103:104], v[103:104], v[107:108]
	v_add_f64 v[105:106], v[105:106], v[109:110]
	;; [unrolled: 1-line block ×4, first 2 shown]
	v_mul_f64 v[127:128], v[151:152], s[38:39]
	v_mul_f64 v[129:130], v[153:154], s[38:39]
	v_add_f64 v[111:112], v[111:112], v[119:120]
	v_add_f64 v[113:114], v[113:114], v[121:122]
	;; [unrolled: 1-line block ×4, first 2 shown]
	v_mul_f64 v[131:132], v[151:152], s[28:29]
	v_fma_f64 v[133:134], v[79:80], s[30:31], v[139:140]
	v_fma_f64 v[139:140], v[81:82], s[30:31], -v[141:142]
	v_mul_f64 v[141:142], v[153:154], s[28:29]
	v_fma_f64 v[159:160], v[79:80], s[22:23], -v[127:128]
	v_fma_f64 v[161:162], v[81:82], s[22:23], v[129:130]
	v_fma_f64 v[129:130], v[81:82], s[22:23], -v[129:130]
	v_fma_f64 v[127:128], v[79:80], s[22:23], v[127:128]
	v_fma_f64 v[163:164], v[79:80], s[0:1], -v[131:132]
	v_add_f64 v[123:124], v[133:134], v[123:124]
	v_add_f64 v[125:126], v[139:140], v[125:126]
	v_fma_f64 v[133:134], v[81:82], s[0:1], v[141:142]
	v_add_f64 v[139:140], v[159:160], v[143:144]
	v_add_f64 v[143:144], v[161:162], v[145:146]
	;; [unrolled: 1-line block ×3, first 2 shown]
	v_add_f64 v[137:138], v[85:86], -v[101:102]
	v_add_f64 v[145:146], v[83:84], -v[99:100]
	s_mov_b32 s19, 0x3fddbe06
	v_add_f64 v[127:128], v[127:128], v[135:136]
	v_add_f64 v[135:136], v[163:164], v[147:148]
	v_add_f64 v[133:134], v[133:134], v[149:150]
	v_mul_f64 v[147:148], v[151:152], s[18:19]
	v_mul_f64 v[149:150], v[153:154], s[18:19]
	v_add_f64 v[83:84], v[83:84], v[99:100]
	v_add_f64 v[85:86], v[85:86], v[101:102]
	v_mul_f64 v[99:100], v[137:138], s[36:37]
	v_mul_f64 v[101:102], v[145:146], s[36:37]
	v_fma_f64 v[131:132], v[79:80], s[0:1], v[131:132]
	v_fma_f64 v[141:142], v[81:82], s[0:1], -v[141:142]
	v_fma_f64 v[151:152], v[79:80], s[6:7], -v[147:148]
	v_fma_f64 v[153:154], v[81:82], s[6:7], v[149:150]
	v_fma_f64 v[79:80], v[79:80], s[6:7], v[147:148]
	v_fma_f64 v[81:82], v[81:82], s[6:7], -v[149:150]
	v_fma_f64 v[147:148], v[83:84], s[0:1], -v[99:100]
	v_fma_f64 v[149:150], v[85:86], s[0:1], v[101:102]
	v_fma_f64 v[99:100], v[83:84], s[0:1], v[99:100]
	v_fma_f64 v[101:102], v[85:86], s[0:1], -v[101:102]
	v_add_f64 v[115:116], v[131:132], v[115:116]
	v_add_f64 v[131:132], v[151:152], v[155:156]
	;; [unrolled: 1-line block ×6, first 2 shown]
	v_mul_f64 v[95:96], v[137:138], s[34:35]
	v_mul_f64 v[147:148], v[137:138], s[40:41]
	;; [unrolled: 1-line block ×4, first 2 shown]
	v_add_f64 v[99:100], v[99:100], v[103:104]
	v_add_f64 v[101:102], v[101:102], v[105:106]
	;; [unrolled: 1-line block ×4, first 2 shown]
	v_fma_f64 v[151:152], v[83:84], s[30:31], -v[95:96]
	v_fma_f64 v[95:96], v[83:84], s[30:31], v[95:96]
	v_fma_f64 v[103:104], v[83:84], s[16:17], -v[147:148]
	v_fma_f64 v[105:106], v[85:86], s[16:17], v[149:150]
	v_fma_f64 v[153:154], v[85:86], s[30:31], v[97:98]
	v_fma_f64 v[97:98], v[85:86], s[30:31], -v[97:98]
	; wave barrier
	s_waitcnt lgkmcnt(0)
                                        ; implicit-def: $vgpr160_vgpr161
                                        ; implicit-def: $vgpr164_vgpr165
	v_add_f64 v[107:108], v[151:152], v[107:108]
	v_add_f64 v[95:96], v[95:96], v[111:112]
	v_mul_f64 v[111:112], v[137:138], s[18:19]
	v_add_f64 v[103:104], v[103:104], v[119:120]
	v_add_f64 v[105:106], v[105:106], v[121:122]
	v_fma_f64 v[119:120], v[83:84], s[16:17], v[147:148]
	v_fma_f64 v[121:122], v[85:86], s[16:17], -v[149:150]
	v_mul_f64 v[147:148], v[137:138], s[26:27]
	v_mul_f64 v[149:150], v[145:146], s[26:27]
	v_add_f64 v[97:98], v[97:98], v[113:114]
	v_mul_f64 v[113:114], v[145:146], s[18:19]
	v_fma_f64 v[151:152], v[83:84], s[6:7], -v[111:112]
	v_fma_f64 v[111:112], v[83:84], s[6:7], v[111:112]
	v_add_f64 v[119:120], v[119:120], v[123:124]
	v_add_f64 v[121:122], v[121:122], v[125:126]
	v_fma_f64 v[123:124], v[83:84], s[4:5], -v[147:148]
	v_fma_f64 v[125:126], v[85:86], s[4:5], v[149:150]
	v_add_f64 v[109:110], v[153:154], v[109:110]
	v_fma_f64 v[153:154], v[85:86], s[6:7], v[113:114]
	v_fma_f64 v[113:114], v[85:86], s[6:7], -v[113:114]
	v_add_f64 v[111:112], v[111:112], v[127:128]
	v_mul_f64 v[127:128], v[137:138], s[24:25]
	v_fma_f64 v[137:138], v[83:84], s[4:5], v[147:148]
	v_add_f64 v[123:124], v[123:124], v[135:136]
	v_add_f64 v[125:126], v[125:126], v[133:134]
	v_add_f64 v[133:134], v[89:90], -v[93:94]
	v_add_f64 v[135:136], v[87:88], -v[91:92]
	v_add_f64 v[113:114], v[113:114], v[129:130]
	v_mul_f64 v[129:130], v[145:146], s[24:25]
	v_fma_f64 v[147:148], v[83:84], s[22:23], -v[127:128]
	v_add_f64 v[87:88], v[87:88], v[91:92]
	v_add_f64 v[89:90], v[89:90], v[93:94]
	v_fma_f64 v[145:146], v[85:86], s[4:5], -v[149:150]
	v_mul_f64 v[91:92], v[133:134], s[20:21]
	v_mul_f64 v[93:94], v[135:136], s[20:21]
	v_fma_f64 v[83:84], v[83:84], s[22:23], v[127:128]
	v_fma_f64 v[149:150], v[85:86], s[22:23], v[129:130]
	v_fma_f64 v[85:86], v[85:86], s[22:23], -v[129:130]
	v_add_f64 v[115:116], v[137:138], v[115:116]
	v_add_f64 v[127:128], v[147:148], v[131:132]
	;; [unrolled: 1-line block ×3, first 2 shown]
	v_fma_f64 v[131:132], v[87:88], s[16:17], -v[91:92]
	v_fma_f64 v[137:138], v[89:90], s[16:17], v[93:94]
	v_add_f64 v[75:76], v[83:84], v[75:76]
	v_mul_f64 v[83:84], v[133:134], s[38:39]
	v_add_f64 v[77:78], v[85:86], v[77:78]
	v_mul_f64 v[85:86], v[135:136], s[38:39]
	v_fma_f64 v[91:92], v[87:88], s[16:17], v[91:92]
	v_fma_f64 v[93:94], v[89:90], s[16:17], -v[93:94]
	v_add_f64 v[79:80], v[131:132], v[79:80]
	v_add_f64 v[81:82], v[137:138], v[81:82]
	v_mul_f64 v[131:132], v[133:134], s[18:19]
	v_mul_f64 v[137:138], v[135:136], s[18:19]
	v_add_f64 v[129:130], v[149:150], v[141:142]
	v_fma_f64 v[141:142], v[87:88], s[22:23], -v[83:84]
	v_fma_f64 v[145:146], v[89:90], s[22:23], v[85:86]
	v_add_f64 v[91:92], v[91:92], v[99:100]
	v_add_f64 v[93:94], v[93:94], v[101:102]
	v_fma_f64 v[83:84], v[87:88], s[22:23], v[83:84]
	v_fma_f64 v[85:86], v[89:90], s[22:23], -v[85:86]
	v_fma_f64 v[99:100], v[87:88], s[6:7], -v[131:132]
	v_fma_f64 v[101:102], v[89:90], s[6:7], v[137:138]
	s_mov_b32 s39, 0x3fcea1e5
	s_mov_b32 s38, s34
	v_add_f64 v[107:108], v[141:142], v[107:108]
	v_mul_f64 v[141:142], v[133:134], s[36:37]
	v_add_f64 v[83:84], v[83:84], v[95:96]
	v_add_f64 v[85:86], v[85:86], v[97:98]
	;; [unrolled: 1-line block ×4, first 2 shown]
	v_fma_f64 v[99:100], v[87:88], s[6:7], v[131:132]
	v_fma_f64 v[101:102], v[89:90], s[6:7], -v[137:138]
	v_mul_f64 v[131:132], v[133:134], s[38:39]
	v_mul_f64 v[137:138], v[135:136], s[38:39]
	v_add_f64 v[109:110], v[145:146], v[109:110]
	v_mul_f64 v[145:146], v[135:136], s[36:37]
	s_mov_b32 s37, 0x3fea55e2
	s_mov_b32 s36, s26
	v_add_f64 v[99:100], v[99:100], v[119:120]
	v_add_f64 v[101:102], v[101:102], v[121:122]
	v_fma_f64 v[119:120], v[87:88], s[30:31], -v[131:132]
	v_fma_f64 v[121:122], v[89:90], s[30:31], v[137:138]
	v_add_f64 v[139:140], v[151:152], v[139:140]
	v_fma_f64 v[103:104], v[87:88], s[0:1], -v[141:142]
	v_fma_f64 v[141:142], v[87:88], s[0:1], v[141:142]
	v_mul_f64 v[133:134], v[133:134], s[36:37]
	v_mul_f64 v[135:136], v[135:136], s[36:37]
	v_fma_f64 v[131:132], v[87:88], s[30:31], v[131:132]
	v_add_f64 v[119:120], v[119:120], v[123:124]
	v_add_f64 v[121:122], v[121:122], v[125:126]
	v_add_f64 v[123:124], v[66:67], -v[70:71]
	v_add_f64 v[125:126], v[64:65], -v[68:69]
	v_add_f64 v[64:65], v[64:65], v[68:69]
	v_add_f64 v[66:67], v[66:67], v[70:71]
	v_fma_f64 v[105:106], v[89:90], s[0:1], v[145:146]
	v_fma_f64 v[145:146], v[89:90], s[0:1], -v[145:146]
	v_add_f64 v[103:104], v[103:104], v[139:140]
	v_add_f64 v[111:112], v[141:142], v[111:112]
	v_mul_f64 v[68:69], v[123:124], s[24:25]
	v_mul_f64 v[70:71], v[125:126], s[24:25]
	v_fma_f64 v[137:138], v[89:90], s[30:31], -v[137:138]
	v_fma_f64 v[139:140], v[87:88], s[4:5], -v[133:134]
	v_fma_f64 v[141:142], v[89:90], s[4:5], v[135:136]
	v_fma_f64 v[87:88], v[87:88], s[4:5], v[133:134]
	v_fma_f64 v[89:90], v[89:90], s[4:5], -v[135:136]
	v_add_f64 v[115:116], v[131:132], v[115:116]
	v_fma_f64 v[131:132], v[64:65], s[22:23], -v[68:69]
	v_fma_f64 v[133:134], v[66:67], s[22:23], v[70:71]
	v_fma_f64 v[68:69], v[64:65], s[22:23], v[68:69]
	v_fma_f64 v[70:71], v[66:67], s[22:23], -v[70:71]
	v_add_f64 v[117:118], v[137:138], v[117:118]
	v_add_f64 v[75:76], v[87:88], v[75:76]
	;; [unrolled: 1-line block ×3, first 2 shown]
	v_mul_f64 v[87:88], v[123:124], s[28:29]
	v_mul_f64 v[89:90], v[125:126], s[28:29]
	v_add_f64 v[79:80], v[131:132], v[79:80]
	v_add_f64 v[81:82], v[133:134], v[81:82]
	v_mul_f64 v[131:132], v[123:124], s[26:27]
	v_mul_f64 v[133:134], v[125:126], s[26:27]
	v_add_f64 v[68:69], v[68:69], v[91:92]
	v_add_f64 v[70:71], v[70:71], v[93:94]
	v_fma_f64 v[135:136], v[64:65], s[0:1], -v[87:88]
	v_fma_f64 v[137:138], v[66:67], s[0:1], v[89:90]
	v_fma_f64 v[87:88], v[64:65], s[0:1], v[87:88]
	v_fma_f64 v[89:90], v[66:67], s[0:1], -v[89:90]
	v_fma_f64 v[91:92], v[64:65], s[4:5], -v[131:132]
	v_fma_f64 v[93:94], v[66:67], s[4:5], v[133:134]
	v_add_f64 v[143:144], v[153:154], v[143:144]
	v_add_f64 v[113:114], v[145:146], v[113:114]
	v_add_f64 v[107:108], v[135:136], v[107:108]
	v_add_f64 v[109:110], v[137:138], v[109:110]
	v_mul_f64 v[135:136], v[123:124], s[38:39]
	v_mul_f64 v[137:138], v[125:126], s[38:39]
	v_add_f64 v[83:84], v[87:88], v[83:84]
	v_add_f64 v[85:86], v[89:90], v[85:86]
	;; [unrolled: 1-line block ×4, first 2 shown]
	v_fma_f64 v[91:92], v[64:65], s[4:5], v[131:132]
	v_fma_f64 v[93:94], v[66:67], s[4:5], -v[133:134]
	v_mul_f64 v[131:132], v[123:124], s[18:19]
	v_mul_f64 v[133:134], v[125:126], s[18:19]
	v_add_f64 v[105:106], v[105:106], v[143:144]
	v_fma_f64 v[95:96], v[64:65], s[30:31], -v[135:136]
	v_fma_f64 v[97:98], v[66:67], s[30:31], v[137:138]
	v_fma_f64 v[135:136], v[64:65], s[30:31], v[135:136]
	v_fma_f64 v[137:138], v[66:67], s[30:31], -v[137:138]
	v_add_f64 v[91:92], v[91:92], v[99:100]
	v_add_f64 v[93:94], v[93:94], v[101:102]
	v_fma_f64 v[99:100], v[64:65], s[6:7], -v[131:132]
	v_fma_f64 v[101:102], v[66:67], s[6:7], v[133:134]
	v_add_f64 v[95:96], v[95:96], v[103:104]
	v_add_f64 v[97:98], v[97:98], v[105:106]
	;; [unrolled: 1-line block ×4, first 2 shown]
	v_fma_f64 v[111:112], v[64:65], s[6:7], v[131:132]
	v_fma_f64 v[113:114], v[66:67], s[6:7], -v[133:134]
	v_mul_f64 v[123:124], v[123:124], s[20:21]
	v_mul_f64 v[125:126], v[125:126], s[20:21]
	v_add_f64 v[99:100], v[99:100], v[119:120]
	v_add_f64 v[101:102], v[101:102], v[121:122]
	v_add_f64 v[120:121], v[58:59], -v[62:63]
	v_add_f64 v[131:132], v[56:57], -v[60:61]
	v_add_f64 v[127:128], v[139:140], v[127:128]
	v_add_f64 v[129:130], v[141:142], v[129:130]
	;; [unrolled: 1-line block ×4, first 2 shown]
	v_fma_f64 v[111:112], v[64:65], s[16:17], -v[123:124]
	v_fma_f64 v[113:114], v[66:67], s[16:17], v[125:126]
	v_add_f64 v[137:138], v[56:57], v[60:61]
	v_add_f64 v[139:140], v[58:59], v[62:63]
	v_mul_f64 v[56:57], v[120:121], s[34:35]
	v_mul_f64 v[58:59], v[131:132], s[34:35]
	v_fma_f64 v[60:61], v[64:65], s[16:17], v[123:124]
	v_fma_f64 v[62:63], v[66:67], s[16:17], -v[125:126]
	v_add_f64 v[141:142], v[111:112], v[127:128]
	v_add_f64 v[128:129], v[113:114], v[129:130]
	v_mul_f64 v[64:65], v[120:121], s[18:19]
	v_mul_f64 v[66:67], v[131:132], s[18:19]
	v_fma_f64 v[111:112], v[137:138], s[30:31], -v[56:57]
	v_fma_f64 v[113:114], v[139:140], s[30:31], v[58:59]
	v_add_f64 v[143:144], v[60:61], v[75:76]
	v_add_f64 v[145:146], v[62:63], v[77:78]
	v_fma_f64 v[60:61], v[137:138], s[30:31], v[56:57]
	v_fma_f64 v[62:63], v[139:140], s[30:31], -v[58:59]
	v_fma_f64 v[75:76], v[137:138], s[6:7], -v[64:65]
	v_fma_f64 v[77:78], v[139:140], s[6:7], v[66:67]
	v_add_f64 v[56:57], v[111:112], v[79:80]
	v_add_f64 v[58:59], v[113:114], v[81:82]
	v_mul_f64 v[79:80], v[120:121], s[24:25]
	v_mul_f64 v[81:82], v[131:132], s[24:25]
	v_add_f64 v[112:113], v[60:61], v[68:69]
	v_add_f64 v[114:115], v[62:63], v[70:71]
	;; [unrolled: 1-line block ×4, first 2 shown]
	v_fma_f64 v[64:65], v[137:138], s[6:7], v[64:65]
	v_fma_f64 v[66:67], v[139:140], s[6:7], -v[66:67]
	v_fma_f64 v[68:69], v[137:138], s[22:23], -v[79:80]
	v_fma_f64 v[70:71], v[139:140], s[22:23], v[81:82]
	v_mul_f64 v[75:76], v[120:121], s[36:37]
	v_mul_f64 v[77:78], v[131:132], s[36:37]
	v_fma_f64 v[79:80], v[137:138], s[22:23], v[79:80]
	v_fma_f64 v[81:82], v[139:140], s[22:23], -v[81:82]
	v_add_f64 v[124:125], v[64:65], v[83:84]
	v_add_f64 v[126:127], v[66:67], v[85:86]
	;; [unrolled: 1-line block ×4, first 2 shown]
	v_fma_f64 v[68:69], v[137:138], s[4:5], -v[75:76]
	v_fma_f64 v[70:71], v[139:140], s[4:5], v[77:78]
	v_add_f64 v[116:117], v[79:80], v[91:92]
	v_add_f64 v[118:119], v[81:82], v[93:94]
	v_fma_f64 v[75:76], v[137:138], s[4:5], v[75:76]
	v_fma_f64 v[77:78], v[139:140], s[4:5], -v[77:78]
	v_mul_f64 v[79:80], v[120:121], s[20:21]
	v_mul_f64 v[81:82], v[131:132], s[20:21]
	;; [unrolled: 1-line block ×4, first 2 shown]
	v_add_f64 v[68:69], v[68:69], v[95:96]
	v_add_f64 v[70:71], v[70:71], v[97:98]
	;; [unrolled: 1-line block ×4, first 2 shown]
	v_fma_f64 v[75:76], v[137:138], s[16:17], -v[79:80]
	v_fma_f64 v[77:78], v[139:140], s[16:17], v[81:82]
	v_fma_f64 v[79:80], v[137:138], s[16:17], v[79:80]
	v_fma_f64 v[81:82], v[139:140], s[16:17], -v[81:82]
	v_fma_f64 v[87:88], v[137:138], s[0:1], -v[83:84]
	v_fma_f64 v[89:90], v[139:140], s[0:1], v[85:86]
	v_fma_f64 v[83:84], v[137:138], s[0:1], v[83:84]
	v_fma_f64 v[85:86], v[139:140], s[0:1], -v[85:86]
	v_add_f64 v[75:76], v[75:76], v[99:100]
	v_add_f64 v[77:78], v[77:78], v[101:102]
	;; [unrolled: 1-line block ×6, first 2 shown]
	v_mul_u32_u24_e32 v87, 13, v175
	v_add_f64 v[83:84], v[83:84], v[143:144]
	v_add_f64 v[85:86], v[85:86], v[145:146]
	v_add_lshl_u32 v179, v180, v87, 4
	ds_write_b128 v179, v[52:55]
	ds_write_b128 v179, v[56:59] offset:16
	ds_write_b128 v179, v[60:63] offset:32
	;; [unrolled: 1-line block ×12, first 2 shown]
	s_waitcnt lgkmcnt(0)
	; wave barrier
	s_waitcnt lgkmcnt(0)
	ds_read_b128 v[128:131], v177
	ds_read_b128 v[156:159], v176 offset:208
	ds_read_b128 v[152:155], v176 offset:416
	;; [unrolled: 1-line block ×7, first 2 shown]
	v_add_co_u32_e64 v173, s[0:1], s12, v178
	v_addc_co_u32_e64 v174, s[0:1], 0, v74, s[0:1]
	s_and_saveexec_b64 s[0:1], vcc
	s_cbranch_execz .LBB0_3
; %bb.2:
	ds_read_b128 v[108:111], v176 offset:128
	ds_read_b128 v[120:123], v176 offset:336
	;; [unrolled: 1-line block ×8, first 2 shown]
.LBB0_3:
	s_or_b64 exec, exec, s[0:1]
	v_add_u32_e32 v52, -5, v175
	v_cndmask_b32_e32 v52, v52, v72, vcc
	v_mul_hi_i32_i24_e32 v53, 0x70, v52
	v_mul_i32_i24_e32 v52, 0x70, v52
	v_mov_b32_e32 v54, s15
	v_add_co_u32_e64 v76, s[0:1], s14, v52
	v_addc_co_u32_e64 v77, s[0:1], v54, v53, s[0:1]
	v_mov_b32_e32 v65, s15
	s_movk_i32 s0, 0x70
	v_mov_b32_e32 v64, s14
	v_mad_u64_u32 v[78:79], s[0:1], v175, s0, v[64:65]
	global_load_dwordx4 v[60:63], v[76:77], off offset:16
	global_load_dwordx4 v[52:55], v[76:77], off offset:32
	;; [unrolled: 1-line block ×6, first 2 shown]
	global_load_dwordx4 v[104:107], v[78:79], off
	global_load_dwordx4 v[100:103], v[78:79], off offset:16
	global_load_dwordx4 v[96:99], v[78:79], off offset:32
	;; [unrolled: 1-line block ×6, first 2 shown]
	s_nop 0
	global_load_dwordx4 v[76:79], v[76:77], off
	s_mov_b32 s0, 0x667f3bcd
	s_mov_b32 s1, 0xbfe6a09e
	;; [unrolled: 1-line block ×4, first 2 shown]
	s_waitcnt vmcnt(9) lgkmcnt(1)
	v_mul_f64 v[197:198], v[166:167], v[74:75]
	v_mul_f64 v[199:200], v[164:165], v[74:75]
	s_waitcnt vmcnt(7)
	v_mul_f64 v[205:206], v[158:159], v[106:107]
	s_waitcnt vmcnt(6)
	v_mul_f64 v[209:210], v[154:155], v[102:103]
	v_mul_f64 v[211:212], v[152:153], v[102:103]
	s_waitcnt vmcnt(5)
	v_mul_f64 v[213:214], v[150:151], v[98:99]
	;; [unrolled: 3-line block ×4, first 2 shown]
	s_waitcnt vmcnt(2)
	v_mul_f64 v[225:226], v[138:139], v[94:95]
	v_mul_f64 v[227:228], v[136:137], v[94:95]
	s_waitcnt vmcnt(1) lgkmcnt(0)
	v_mul_f64 v[229:230], v[134:135], v[82:83]
	v_mul_f64 v[231:232], v[132:133], v[82:83]
	;; [unrolled: 1-line block ×12, first 2 shown]
	s_waitcnt vmcnt(0)
	v_mul_f64 v[233:234], v[122:123], v[78:79]
	v_mul_f64 v[235:236], v[120:121], v[78:79]
	v_fma_f64 v[156:157], v[156:157], v[104:105], -v[205:206]
	v_fma_f64 v[152:153], v[152:153], v[100:101], -v[209:210]
	v_fma_f64 v[154:155], v[154:155], v[100:101], v[211:212]
	v_fma_f64 v[148:149], v[148:149], v[96:97], -v[213:214]
	v_fma_f64 v[150:151], v[150:151], v[96:97], v[215:216]
	;; [unrolled: 2-line block ×3, first 2 shown]
	v_fma_f64 v[140:141], v[140:141], v[84:85], -v[221:222]
	v_fma_f64 v[136:137], v[136:137], v[92:93], -v[225:226]
	v_fma_f64 v[138:139], v[138:139], v[92:93], v[227:228]
	v_fma_f64 v[132:133], v[132:133], v[80:81], -v[229:230]
	v_fma_f64 v[134:135], v[134:135], v[80:81], v[231:232]
	v_mul_f64 v[189:190], v[114:115], v[58:59]
	v_fma_f64 v[116:117], v[116:117], v[60:61], -v[181:182]
	v_fma_f64 v[118:119], v[118:119], v[60:61], v[183:184]
	v_fma_f64 v[181:182], v[124:125], v[52:53], -v[185:186]
	v_fma_f64 v[183:184], v[126:127], v[52:53], v[187:188]
	;; [unrolled: 2-line block ×5, first 2 shown]
	v_fma_f64 v[158:159], v[158:159], v[104:105], v[207:208]
	v_fma_f64 v[142:143], v[142:143], v[84:85], v[223:224]
	v_fma_f64 v[168:169], v[120:121], v[76:77], -v[233:234]
	v_fma_f64 v[170:171], v[122:123], v[76:77], v[235:236]
	v_add_f64 v[120:121], v[128:129], -v[144:145]
	v_add_f64 v[122:123], v[130:131], -v[146:147]
	;; [unrolled: 1-line block ×7, first 2 shown]
	v_mul_f64 v[191:192], v[112:113], v[58:59]
	v_fma_f64 v[112:113], v[112:113], v[56:57], -v[189:190]
	v_add_f64 v[142:143], v[158:159], -v[142:143]
	v_fma_f64 v[144:145], v[152:153], 2.0, -v[136:137]
	v_fma_f64 v[146:147], v[154:155], 2.0, -v[138:139]
	;; [unrolled: 1-line block ×3, first 2 shown]
	v_add_f64 v[187:188], v[120:121], -v[138:139]
	v_add_f64 v[189:190], v[122:123], v[136:137]
	v_fma_f64 v[136:137], v[148:149], 2.0, -v[132:133]
	v_fma_f64 v[138:139], v[150:151], 2.0, -v[134:135]
	v_add_f64 v[134:135], v[140:141], -v[134:135]
	v_fma_f64 v[114:115], v[114:115], v[56:57], v[191:192]
	v_fma_f64 v[128:129], v[128:129], 2.0, -v[120:121]
	v_fma_f64 v[130:131], v[130:131], 2.0, -v[122:123]
	v_fma_f64 v[154:155], v[158:159], 2.0, -v[142:143]
	v_add_f64 v[191:192], v[142:143], v[132:133]
	v_fma_f64 v[120:121], v[120:121], 2.0, -v[187:188]
	v_add_f64 v[136:137], v[152:153], -v[136:137]
	v_fma_f64 v[140:141], v[140:141], 2.0, -v[134:135]
	v_fma_f64 v[122:123], v[122:123], 2.0, -v[189:190]
	v_add_f64 v[132:133], v[128:129], -v[144:145]
	v_add_f64 v[158:159], v[130:131], -v[146:147]
	;; [unrolled: 1-line block ×3, first 2 shown]
	v_fma_f64 v[142:143], v[142:143], 2.0, -v[191:192]
	v_add_f64 v[112:113], v[108:109], -v[112:113]
	v_fma_f64 v[148:149], v[152:153], 2.0, -v[136:137]
	v_fma_f64 v[152:153], v[140:141], s[0:1], v[120:121]
	v_add_f64 v[114:115], v[110:111], -v[114:115]
	v_add_f64 v[185:186], v[116:117], -v[160:161]
	;; [unrolled: 1-line block ×4, first 2 shown]
	v_fma_f64 v[128:129], v[128:129], 2.0, -v[132:133]
	v_fma_f64 v[130:131], v[130:131], 2.0, -v[158:159]
	;; [unrolled: 1-line block ×3, first 2 shown]
	v_fma_f64 v[154:155], v[142:143], s[0:1], v[122:123]
	v_add_f64 v[197:198], v[183:184], -v[166:167]
	v_add_f64 v[199:200], v[168:169], -v[124:125]
	v_add_f64 v[146:147], v[158:159], v[136:137]
	v_fma_f64 v[152:153], v[142:143], s[0:1], v[152:153]
	v_add_f64 v[136:137], v[170:171], -v[126:127]
	v_add_f64 v[144:145], v[132:133], -v[138:139]
	v_add_f64 v[148:149], v[128:129], -v[148:149]
	v_add_f64 v[150:151], v[130:131], -v[150:151]
	v_fma_f64 v[154:155], v[140:141], s[4:5], v[154:155]
	v_add_f64 v[124:125], v[114:115], v[185:186]
	v_add_f64 v[201:202], v[199:200], -v[197:198]
	v_fma_f64 v[164:165], v[120:121], 2.0, -v[152:153]
	v_add_f64 v[120:121], v[112:113], -v[193:194]
	v_add_f64 v[203:204], v[136:137], v[195:196]
	v_fma_f64 v[140:141], v[134:135], s[4:5], v[187:188]
	v_fma_f64 v[156:157], v[132:133], 2.0, -v[144:145]
	v_fma_f64 v[160:161], v[128:129], 2.0, -v[148:149]
	;; [unrolled: 1-line block ×4, first 2 shown]
	v_fma_f64 v[142:143], v[191:192], s[4:5], v[189:190]
	v_fma_f64 v[122:123], v[108:109], 2.0, -v[112:113]
	v_fma_f64 v[126:127], v[110:111], 2.0, -v[114:115]
	;; [unrolled: 1-line block ×12, first 2 shown]
	v_fma_f64 v[168:169], v[191:192], s[0:1], v[140:141]
	v_fma_f64 v[170:171], v[134:135], s[4:5], v[142:143]
	v_add_f64 v[134:135], v[122:123], -v[108:109]
	v_add_f64 v[136:137], v[126:127], -v[110:111]
	v_fma_f64 v[108:109], v[112:113], s[0:1], v[128:129]
	v_fma_f64 v[110:111], v[114:115], s[0:1], v[130:131]
	v_add_f64 v[142:143], v[138:139], -v[116:117]
	v_add_f64 v[140:141], v[132:133], -v[118:119]
	v_fma_f64 v[116:117], v[201:202], s[4:5], v[120:121]
	v_fma_f64 v[118:119], v[203:204], s[4:5], v[124:125]
	v_fma_f64 v[158:159], v[158:159], 2.0, -v[146:147]
	v_fma_f64 v[181:182], v[187:188], 2.0, -v[168:169]
	v_fma_f64 v[108:109], v[114:115], s[0:1], v[108:109]
	v_fma_f64 v[110:111], v[112:113], s[4:5], v[110:111]
	v_add_f64 v[112:113], v[134:135], -v[142:143]
	v_add_f64 v[114:115], v[136:137], v[140:141]
	v_fma_f64 v[116:117], v[203:204], s[0:1], v[116:117]
	v_fma_f64 v[118:119], v[201:202], s[4:5], v[118:119]
	v_fma_f64 v[183:184], v[189:190], 2.0, -v[170:171]
	ds_write_b128 v177, v[160:163]
	ds_write_b128 v176, v[164:167] offset:208
	ds_write_b128 v176, v[156:159] offset:416
	;; [unrolled: 1-line block ×7, first 2 shown]
	s_and_saveexec_b64 s[0:1], vcc
	s_cbranch_execz .LBB0_5
; %bb.4:
	v_fma_f64 v[144:145], v[126:127], 2.0, -v[136:137]
	v_fma_f64 v[126:127], v[138:139], 2.0, -v[142:143]
	;; [unrolled: 1-line block ×7, first 2 shown]
	v_add_f64 v[140:141], v[144:145], -v[126:127]
	v_fma_f64 v[126:127], v[136:137], 2.0, -v[114:115]
	v_add_f64 v[138:139], v[142:143], -v[122:123]
	v_fma_f64 v[122:123], v[124:125], 2.0, -v[118:119]
	v_fma_f64 v[124:125], v[134:135], 2.0, -v[112:113]
	;; [unrolled: 1-line block ×4, first 2 shown]
	ds_write_b128 v176, v[108:111] offset:1168
	ds_write_b128 v176, v[112:115] offset:1376
	;; [unrolled: 1-line block ×8, first 2 shown]
.LBB0_5:
	s_or_b64 exec, exec, s[0:1]
	s_waitcnt lgkmcnt(0)
	; wave barrier
	s_waitcnt lgkmcnt(0)
	global_load_dwordx4 v[128:131], v[173:174], off offset:1664
	s_add_u32 s0, s12, 0x680
	s_addc_u32 s1, s13, 0
	global_load_dwordx4 v[120:123], v178, s[0:1] offset:128
	global_load_dwordx4 v[124:127], v178, s[0:1] offset:256
	;; [unrolled: 1-line block ×12, first 2 shown]
	ds_read_b128 v[181:184], v177
	v_lshl_add_u32 v173, v180, 4, v178
	s_mov_b32 s24, 0x4267c47c
	s_mov_b32 s25, 0xbfddbe06
	;; [unrolled: 1-line block ×36, first 2 shown]
	s_waitcnt vmcnt(12) lgkmcnt(0)
	v_mul_f64 v[185:186], v[183:184], v[130:131]
	v_mul_f64 v[130:131], v[181:182], v[130:131]
	v_fma_f64 v[180:181], v[181:182], v[128:129], -v[185:186]
	v_fma_f64 v[182:183], v[183:184], v[128:129], v[130:131]
	ds_write_b128 v177, v[180:183]
	ds_read_b128 v[128:131], v173 offset:128
	ds_read_b128 v[180:183], v176 offset:256
	;; [unrolled: 1-line block ×12, first 2 shown]
	s_waitcnt vmcnt(11) lgkmcnt(11)
	v_mul_f64 v[224:225], v[130:131], v[122:123]
	v_mul_f64 v[122:123], v[128:129], v[122:123]
	s_waitcnt vmcnt(10) lgkmcnt(10)
	v_mul_f64 v[226:227], v[182:183], v[126:127]
	v_mul_f64 v[228:229], v[180:181], v[126:127]
	;; [unrolled: 3-line block ×12, first 2 shown]
	v_fma_f64 v[126:127], v[128:129], v[120:121], -v[224:225]
	v_fma_f64 v[128:129], v[130:131], v[120:121], v[122:123]
	v_fma_f64 v[120:121], v[180:181], v[124:125], -v[226:227]
	v_fma_f64 v[122:123], v[182:183], v[124:125], v[228:229]
	;; [unrolled: 2-line block ×12, first 2 shown]
	ds_write_b128 v173, v[126:129] offset:128
	ds_write_b128 v176, v[120:123] offset:256
	;; [unrolled: 1-line block ×12, first 2 shown]
	s_waitcnt lgkmcnt(0)
	; wave barrier
	s_waitcnt lgkmcnt(0)
	ds_read_b128 v[120:123], v173 offset:128
	ds_read_b128 v[132:135], v177
	ds_read_b128 v[136:139], v176 offset:256
	ds_read_b128 v[140:143], v176 offset:384
	;; [unrolled: 1-line block ×3, first 2 shown]
	s_waitcnt lgkmcnt(3)
	v_add_f64 v[124:125], v[132:133], v[120:121]
	v_add_f64 v[126:127], v[134:135], v[122:123]
	s_waitcnt lgkmcnt(2)
	v_add_f64 v[124:125], v[124:125], v[136:137]
	v_add_f64 v[126:127], v[126:127], v[138:139]
	;; [unrolled: 3-line block ×3, first 2 shown]
	ds_read_b128 v[148:151], v176 offset:1408
	ds_read_b128 v[152:155], v176 offset:1536
	;; [unrolled: 1-line block ×6, first 2 shown]
	s_waitcnt lgkmcnt(4)
	v_add_f64 v[180:181], v[122:123], -v[154:155]
	v_add_f64 v[186:187], v[122:123], v[154:155]
	v_add_f64 v[188:189], v[120:121], v[152:153]
	v_add_f64 v[190:191], v[120:121], -v[152:153]
	v_add_f64 v[182:183], v[164:165], v[144:145]
	v_add_f64 v[184:185], v[166:167], v[146:147]
	ds_read_b128 v[164:167], v176 offset:1152
	ds_read_b128 v[168:171], v176 offset:1280
	v_mul_f64 v[120:121], v[180:181], s[24:25]
	v_mul_f64 v[192:193], v[180:181], s[12:13]
	;; [unrolled: 1-line block ×5, first 2 shown]
	s_waitcnt lgkmcnt(5)
	v_add_f64 v[122:123], v[182:183], v[156:157]
	v_add_f64 v[182:183], v[184:185], v[158:159]
	v_mul_f64 v[184:185], v[186:187], s[20:21]
	v_mul_f64 v[200:201], v[180:181], s[16:17]
	;; [unrolled: 1-line block ×3, first 2 shown]
	v_fma_f64 v[208:209], v[188:189], s[20:21], v[120:121]
	v_fma_f64 v[120:121], v[188:189], s[20:21], -v[120:121]
	v_mul_f64 v[204:205], v[180:181], s[30:31]
	s_waitcnt lgkmcnt(4)
	v_add_f64 v[122:123], v[122:123], v[124:125]
	v_add_f64 v[182:183], v[182:183], v[126:127]
	v_mul_f64 v[206:207], v[186:187], s[34:35]
	v_fma_f64 v[210:211], v[190:191], s[22:23], v[184:185]
	v_fma_f64 v[184:185], v[190:191], s[24:25], v[184:185]
	;; [unrolled: 1-line block ×5, first 2 shown]
	s_waitcnt lgkmcnt(3)
	v_add_f64 v[122:123], v[122:123], v[128:129]
	v_add_f64 v[182:183], v[182:183], v[130:131]
	v_fma_f64 v[218:219], v[190:191], s[6:7], v[198:199]
	v_fma_f64 v[220:221], v[188:189], s[26:27], v[200:201]
	;; [unrolled: 1-line block ×3, first 2 shown]
	v_add_f64 v[228:229], v[132:133], v[120:121]
	v_fma_f64 v[202:203], v[190:191], s[16:17], v[202:203]
	v_fma_f64 v[224:225], v[188:189], s[34:35], v[204:205]
	s_waitcnt lgkmcnt(2)
	v_add_f64 v[122:123], v[122:123], v[160:161]
	v_add_f64 v[182:183], v[182:183], v[162:163]
	v_fma_f64 v[226:227], v[190:191], s[36:37], v[206:207]
	v_fma_f64 v[194:195], v[190:191], s[12:13], v[194:195]
	v_fma_f64 v[198:199], v[190:191], s[0:1], v[198:199]
	v_mul_f64 v[180:181], v[180:181], s[38:39]
	v_fma_f64 v[204:205], v[188:189], s[34:35], -v[204:205]
	v_fma_f64 v[206:207], v[190:191], s[30:31], v[206:207]
	s_waitcnt lgkmcnt(1)
	v_add_f64 v[122:123], v[122:123], v[164:165]
	v_add_f64 v[182:183], v[182:183], v[166:167]
	v_fma_f64 v[192:193], v[188:189], s[14:15], -v[192:193]
	v_fma_f64 v[196:197], v[188:189], s[4:5], -v[196:197]
	;; [unrolled: 1-line block ×3, first 2 shown]
	v_add_f64 v[208:209], v[132:133], v[208:209]
	v_add_f64 v[210:211], v[134:135], v[210:211]
	;; [unrolled: 1-line block ×3, first 2 shown]
	s_waitcnt lgkmcnt(0)
	v_add_f64 v[120:121], v[122:123], v[168:169]
	v_add_f64 v[122:123], v[182:183], v[170:171]
	;; [unrolled: 1-line block ×12, first 2 shown]
	v_add_f64 v[138:139], v[138:139], -v[150:151]
	v_mul_f64 v[150:151], v[186:187], s[40:41]
	v_add_f64 v[198:199], v[134:135], v[198:199]
	v_fma_f64 v[186:187], v[188:189], s[40:41], v[180:181]
	v_add_f64 v[120:121], v[120:121], v[152:153]
	v_add_f64 v[122:123], v[122:123], v[154:155]
	;; [unrolled: 1-line block ×6, first 2 shown]
	v_add_f64 v[136:137], v[136:137], -v[148:149]
	v_mul_f64 v[148:149], v[138:139], s[12:13]
	v_mul_f64 v[226:227], v[222:223], s[14:15]
	v_fma_f64 v[230:231], v[190:191], s[42:43], v[150:151]
	v_fma_f64 v[150:151], v[190:191], s[38:39], v[150:151]
	v_fma_f64 v[180:181], v[188:189], s[40:41], -v[180:181]
	v_add_f64 v[188:189], v[132:133], v[204:205]
	v_add_f64 v[190:191], v[134:135], v[206:207]
	;; [unrolled: 1-line block ×3, first 2 shown]
	v_fma_f64 v[204:205], v[224:225], s[14:15], v[148:149]
	v_fma_f64 v[206:207], v[136:137], s[18:19], v[226:227]
	v_add_f64 v[230:231], v[134:135], v[230:231]
	v_add_f64 v[134:135], v[134:135], v[150:151]
	v_mul_f64 v[150:151], v[138:139], s[16:17]
	v_add_f64 v[196:197], v[132:133], v[196:197]
	v_add_f64 v[200:201], v[132:133], v[200:201]
	;; [unrolled: 1-line block ×4, first 2 shown]
	v_mul_f64 v[180:181], v[222:223], s[26:27]
	v_add_f64 v[204:205], v[204:205], v[208:209]
	v_add_f64 v[206:207], v[206:207], v[210:211]
	v_fma_f64 v[148:149], v[224:225], s[14:15], -v[148:149]
	v_fma_f64 v[208:209], v[136:137], s[12:13], v[226:227]
	v_mul_f64 v[210:211], v[138:139], s[38:39]
	v_mul_f64 v[226:227], v[222:223], s[40:41]
	v_fma_f64 v[232:233], v[224:225], s[26:27], v[150:151]
	v_fma_f64 v[150:151], v[224:225], s[26:27], -v[150:151]
	v_fma_f64 v[234:235], v[136:137], s[28:29], v[180:181]
	v_fma_f64 v[180:181], v[136:137], s[16:17], v[180:181]
	v_add_f64 v[148:149], v[148:149], v[228:229]
	v_add_f64 v[182:183], v[208:209], v[182:183]
	v_fma_f64 v[208:209], v[224:225], s[40:41], v[210:211]
	v_fma_f64 v[228:229], v[136:137], s[42:43], v[226:227]
	v_add_f64 v[184:185], v[232:233], v[184:185]
	v_add_f64 v[150:151], v[150:151], v[192:193]
	v_mul_f64 v[192:193], v[138:139], s[36:37]
	v_add_f64 v[180:181], v[180:181], v[194:195]
	v_mul_f64 v[194:195], v[222:223], s[34:35]
	v_add_f64 v[212:213], v[234:235], v[212:213]
	v_add_f64 v[208:209], v[208:209], v[214:215]
	;; [unrolled: 1-line block ×3, first 2 shown]
	v_mul_f64 v[228:229], v[222:223], s[4:5]
	v_mul_f64 v[216:217], v[138:139], s[6:7]
	v_fma_f64 v[232:233], v[224:225], s[34:35], v[192:193]
	v_fma_f64 v[192:193], v[224:225], s[34:35], -v[192:193]
	v_fma_f64 v[210:211], v[224:225], s[40:41], -v[210:211]
	v_fma_f64 v[234:235], v[136:137], s[30:31], v[194:195]
	v_fma_f64 v[194:195], v[136:137], s[36:37], v[194:195]
	;; [unrolled: 1-line block ×5, first 2 shown]
	v_mul_f64 v[138:139], v[138:139], s[22:23]
	v_add_f64 v[192:193], v[192:193], v[200:201]
	v_add_f64 v[200:201], v[142:143], -v[170:171]
	v_add_f64 v[142:143], v[142:143], v[170:171]
	v_mul_f64 v[170:171], v[222:223], s[20:21]
	v_add_f64 v[196:197], v[210:211], v[196:197]
	v_add_f64 v[210:211], v[232:233], v[218:219]
	;; [unrolled: 1-line block ×5, first 2 shown]
	v_fma_f64 v[202:203], v[224:225], s[4:5], -v[216:217]
	v_fma_f64 v[216:217], v[136:137], s[6:7], v[228:229]
	v_add_f64 v[220:221], v[140:141], v[168:169]
	v_add_f64 v[140:141], v[140:141], -v[168:169]
	v_mul_f64 v[168:169], v[200:201], s[0:1]
	v_fma_f64 v[228:229], v[136:137], s[24:25], v[170:171]
	v_fma_f64 v[136:137], v[136:137], s[22:23], v[170:171]
	v_add_f64 v[198:199], v[226:227], v[198:199]
	v_mul_f64 v[222:223], v[142:143], s[4:5]
	v_fma_f64 v[226:227], v[224:225], s[20:21], v[138:139]
	v_fma_f64 v[138:139], v[224:225], s[20:21], -v[138:139]
	v_add_f64 v[170:171], v[202:203], v[188:189]
	v_add_f64 v[188:189], v[216:217], v[190:191]
	v_fma_f64 v[190:191], v[220:221], s[4:5], v[168:169]
	v_add_f64 v[134:135], v[136:137], v[134:135]
	v_mul_f64 v[136:137], v[200:201], s[38:39]
	v_fma_f64 v[202:203], v[140:141], s[6:7], v[222:223]
	v_fma_f64 v[168:169], v[220:221], s[4:5], -v[168:169]
	v_add_f64 v[132:133], v[138:139], v[132:133]
	v_mul_f64 v[138:139], v[142:143], s[40:41]
	v_add_f64 v[186:187], v[226:227], v[186:187]
	v_add_f64 v[190:191], v[190:191], v[204:205]
	v_fma_f64 v[204:205], v[140:141], s[0:1], v[222:223]
	v_mul_f64 v[222:223], v[142:143], s[26:27]
	v_fma_f64 v[224:225], v[220:221], s[40:41], v[136:137]
	v_fma_f64 v[136:137], v[220:221], s[40:41], -v[136:137]
	v_add_f64 v[202:203], v[202:203], v[206:207]
	v_mul_f64 v[206:207], v[200:201], s[28:29]
	v_fma_f64 v[226:227], v[140:141], s[42:43], v[138:139]
	v_fma_f64 v[138:139], v[140:141], s[38:39], v[138:139]
	v_add_f64 v[148:149], v[168:169], v[148:149]
	v_add_f64 v[168:169], v[204:205], v[182:183]
	v_fma_f64 v[204:205], v[140:141], s[16:17], v[222:223]
	v_add_f64 v[136:137], v[136:137], v[150:151]
	v_mul_f64 v[150:151], v[200:201], s[22:23]
	v_fma_f64 v[182:183], v[220:221], s[26:27], v[206:207]
	v_add_f64 v[184:185], v[224:225], v[184:185]
	v_add_f64 v[138:139], v[138:139], v[180:181]
	v_mul_f64 v[180:181], v[142:143], s[20:21]
	v_add_f64 v[216:217], v[228:229], v[230:231]
	v_add_f64 v[204:205], v[204:205], v[214:215]
	v_mul_f64 v[214:215], v[142:143], s[14:15]
	v_fma_f64 v[224:225], v[220:221], s[20:21], v[150:151]
	v_fma_f64 v[150:151], v[220:221], s[20:21], -v[150:151]
	v_add_f64 v[212:213], v[226:227], v[212:213]
	v_add_f64 v[182:183], v[182:183], v[208:209]
	v_mul_f64 v[208:209], v[200:201], s[12:13]
	v_fma_f64 v[226:227], v[140:141], s[24:25], v[180:181]
	v_fma_f64 v[180:181], v[140:141], s[22:23], v[180:181]
	;; [unrolled: 1-line block ×3, first 2 shown]
	v_fma_f64 v[206:207], v[220:221], s[26:27], -v[206:207]
	v_add_f64 v[150:151], v[150:151], v[192:193]
	v_add_f64 v[192:193], v[146:147], -v[166:167]
	v_add_f64 v[146:147], v[146:147], v[166:167]
	v_fma_f64 v[222:223], v[140:141], s[28:29], v[222:223]
	v_fma_f64 v[228:229], v[220:221], s[14:15], v[208:209]
	v_add_f64 v[152:153], v[180:181], v[152:153]
	v_add_f64 v[180:181], v[230:231], v[194:195]
	v_mul_f64 v[166:167], v[200:201], s[30:31]
	v_mul_f64 v[142:143], v[142:143], s[34:35]
	v_fma_f64 v[194:195], v[220:221], s[14:15], -v[208:209]
	v_fma_f64 v[200:201], v[140:141], s[12:13], v[214:215]
	v_add_f64 v[208:209], v[144:145], v[164:165]
	v_add_f64 v[144:145], v[144:145], -v[164:165]
	v_mul_f64 v[164:165], v[192:193], s[16:17]
	v_mul_f64 v[214:215], v[146:147], s[26:27]
	v_add_f64 v[196:197], v[206:207], v[196:197]
	v_add_f64 v[198:199], v[222:223], v[198:199]
	;; [unrolled: 1-line block ×4, first 2 shown]
	v_fma_f64 v[218:219], v[220:221], s[34:35], v[166:167]
	v_fma_f64 v[222:223], v[140:141], s[36:37], v[142:143]
	v_fma_f64 v[166:167], v[220:221], s[34:35], -v[166:167]
	v_fma_f64 v[140:141], v[140:141], s[30:31], v[142:143]
	v_add_f64 v[142:143], v[194:195], v[170:171]
	v_add_f64 v[170:171], v[200:201], v[188:189]
	v_fma_f64 v[188:189], v[208:209], s[26:27], v[164:165]
	v_fma_f64 v[194:195], v[144:145], s[28:29], v[214:215]
	v_fma_f64 v[164:165], v[208:209], s[26:27], -v[164:165]
	v_add_f64 v[186:187], v[218:219], v[186:187]
	v_add_f64 v[132:133], v[166:167], v[132:133]
	;; [unrolled: 1-line block ×3, first 2 shown]
	v_mul_f64 v[140:141], v[192:193], s[36:37]
	v_mul_f64 v[166:167], v[146:147], s[34:35]
	v_add_f64 v[188:189], v[188:189], v[190:191]
	v_add_f64 v[190:191], v[194:195], v[202:203]
	v_fma_f64 v[194:195], v[144:145], s[16:17], v[214:215]
	v_mul_f64 v[202:203], v[192:193], s[22:23]
	v_mul_f64 v[214:215], v[146:147], s[20:21]
	v_add_f64 v[200:201], v[222:223], v[216:217]
	v_fma_f64 v[216:217], v[208:209], s[34:35], v[140:141]
	v_fma_f64 v[218:219], v[144:145], s[30:31], v[166:167]
	v_fma_f64 v[140:141], v[208:209], s[34:35], -v[140:141]
	v_fma_f64 v[166:167], v[144:145], s[36:37], v[166:167]
	v_add_f64 v[148:149], v[164:165], v[148:149]
	v_add_f64 v[164:165], v[194:195], v[168:169]
	v_fma_f64 v[168:169], v[208:209], s[20:21], v[202:203]
	v_fma_f64 v[194:195], v[144:145], s[24:25], v[214:215]
	v_add_f64 v[154:155], v[236:237], v[154:155]
	v_add_f64 v[184:185], v[216:217], v[184:185]
	;; [unrolled: 1-line block ×4, first 2 shown]
	v_mul_f64 v[140:141], v[192:193], s[0:1]
	v_mul_f64 v[166:167], v[146:147], s[4:5]
	v_add_f64 v[168:169], v[168:169], v[182:183]
	v_add_f64 v[182:183], v[194:195], v[204:205]
	v_fma_f64 v[194:195], v[208:209], s[20:21], -v[202:203]
	v_fma_f64 v[202:203], v[144:145], s[22:23], v[214:215]
	v_mul_f64 v[214:215], v[146:147], s[40:41]
	v_add_f64 v[212:213], v[218:219], v[212:213]
	v_mul_f64 v[204:205], v[192:193], s[42:43]
	v_fma_f64 v[216:217], v[208:209], s[4:5], v[140:141]
	v_fma_f64 v[218:219], v[144:145], s[6:7], v[166:167]
	v_fma_f64 v[140:141], v[208:209], s[4:5], -v[140:141]
	v_fma_f64 v[166:167], v[144:145], s[0:1], v[166:167]
	v_add_f64 v[194:195], v[194:195], v[196:197]
	v_add_f64 v[196:197], v[202:203], v[198:199]
	v_fma_f64 v[202:203], v[144:145], s[38:39], v[214:215]
	v_add_f64 v[154:155], v[228:229], v[154:155]
	v_fma_f64 v[198:199], v[208:209], s[40:41], v[204:205]
	v_mul_f64 v[146:147], v[146:147], s[14:15]
	v_add_f64 v[140:141], v[140:141], v[150:151]
	v_add_f64 v[150:151], v[166:167], v[152:153]
	v_mul_f64 v[152:153], v[192:193], s[18:19]
	v_fma_f64 v[192:193], v[144:145], s[42:43], v[214:215]
	v_add_f64 v[166:167], v[202:203], v[180:181]
	v_add_f64 v[180:181], v[158:159], -v[162:163]
	v_add_f64 v[158:159], v[158:159], v[162:163]
	v_add_f64 v[154:155], v[198:199], v[154:155]
	v_fma_f64 v[162:163], v[208:209], s[40:41], -v[204:205]
	v_add_f64 v[204:205], v[156:157], v[160:161]
	v_fma_f64 v[198:199], v[208:209], s[14:15], v[152:153]
	v_add_f64 v[156:157], v[156:157], -v[160:161]
	v_fma_f64 v[202:203], v[144:145], s[12:13], v[146:147]
	v_mul_f64 v[160:161], v[180:181], s[30:31]
	v_mul_f64 v[214:215], v[158:159], s[34:35]
	v_fma_f64 v[152:153], v[208:209], s[14:15], -v[152:153]
	v_fma_f64 v[144:145], v[144:145], s[18:19], v[146:147]
	v_add_f64 v[142:143], v[162:163], v[142:143]
	v_add_f64 v[146:147], v[192:193], v[170:171]
	;; [unrolled: 1-line block ×4, first 2 shown]
	v_fma_f64 v[186:187], v[204:205], s[34:35], v[160:161]
	v_fma_f64 v[192:193], v[156:157], s[36:37], v[214:215]
	v_add_f64 v[132:133], v[152:153], v[132:133]
	v_add_f64 v[134:135], v[144:145], v[134:135]
	v_mul_f64 v[144:145], v[180:181], s[6:7]
	v_mul_f64 v[152:153], v[158:159], s[4:5]
	v_fma_f64 v[160:161], v[204:205], s[34:35], -v[160:161]
	v_fma_f64 v[198:199], v[156:157], s[30:31], v[214:215]
	v_add_f64 v[186:187], v[186:187], v[188:189]
	v_add_f64 v[188:189], v[192:193], v[190:191]
	v_mul_f64 v[190:191], v[180:181], s[12:13]
	v_mul_f64 v[192:193], v[158:159], s[14:15]
	v_fma_f64 v[200:201], v[204:205], s[4:5], v[144:145]
	v_fma_f64 v[202:203], v[156:157], s[0:1], v[152:153]
	v_add_f64 v[148:149], v[160:161], v[148:149]
	v_add_f64 v[160:161], v[198:199], v[164:165]
	v_fma_f64 v[152:153], v[156:157], s[6:7], v[152:153]
	v_fma_f64 v[144:145], v[204:205], s[4:5], -v[144:145]
	v_fma_f64 v[164:165], v[204:205], s[14:15], v[190:191]
	v_fma_f64 v[198:199], v[156:157], s[18:19], v[192:193]
	v_add_f64 v[184:185], v[200:201], v[184:185]
	v_add_f64 v[200:201], v[202:203], v[212:213]
	v_mul_f64 v[202:203], v[180:181], s[42:43]
	v_mul_f64 v[208:209], v[158:159], s[40:41]
	v_add_f64 v[138:139], v[152:153], v[138:139]
	v_add_f64 v[206:207], v[216:217], v[206:207]
	;; [unrolled: 1-line block ×4, first 2 shown]
	v_fma_f64 v[168:169], v[156:157], s[12:13], v[192:193]
	v_mul_f64 v[198:199], v[158:159], s[20:21]
	v_fma_f64 v[182:183], v[204:205], s[40:41], v[202:203]
	v_add_f64 v[136:137], v[144:145], v[136:137]
	v_fma_f64 v[144:145], v[204:205], s[14:15], -v[190:191]
	v_fma_f64 v[190:191], v[156:157], s[38:39], v[208:209]
	v_mul_f64 v[192:193], v[180:181], s[22:23]
	v_fma_f64 v[202:203], v[204:205], s[40:41], -v[202:203]
	v_add_f64 v[168:169], v[168:169], v[196:197]
	v_fma_f64 v[196:197], v[156:157], s[24:25], v[198:199]
	v_fma_f64 v[208:209], v[156:157], s[42:43], v[208:209]
	v_add_f64 v[210:211], v[218:219], v[210:211]
	v_add_f64 v[182:183], v[182:183], v[206:207]
	v_mul_f64 v[180:181], v[180:181], s[16:17]
	v_mul_f64 v[158:159], v[158:159], s[26:27]
	v_add_f64 v[206:207], v[126:127], v[130:131]
	v_add_f64 v[194:195], v[144:145], v[194:195]
	;; [unrolled: 1-line block ×3, first 2 shown]
	v_add_f64 v[196:197], v[126:127], -v[130:131]
	v_fma_f64 v[144:145], v[204:205], s[20:21], v[192:193]
	v_add_f64 v[140:141], v[202:203], v[140:141]
	v_add_f64 v[202:203], v[208:209], v[150:151]
	v_fma_f64 v[150:151], v[204:205], s[20:21], -v[192:193]
	v_fma_f64 v[192:193], v[156:157], s[22:23], v[198:199]
	v_add_f64 v[190:191], v[190:191], v[210:211]
	v_fma_f64 v[126:127], v[204:205], s[26:27], v[180:181]
	v_fma_f64 v[130:131], v[156:157], s[28:29], v[158:159]
	v_add_f64 v[208:209], v[124:125], v[128:129]
	v_add_f64 v[210:211], v[124:125], -v[128:129]
	v_mul_f64 v[124:125], v[196:197], s[38:39]
	v_mul_f64 v[128:129], v[206:207], s[40:41]
	v_add_f64 v[198:199], v[144:145], v[154:155]
	v_add_f64 v[192:193], v[192:193], v[146:147]
	v_fma_f64 v[146:147], v[156:157], s[16:17], v[158:159]
	v_mul_f64 v[154:155], v[206:207], s[20:21]
	v_add_f64 v[142:143], v[150:151], v[142:143]
	v_fma_f64 v[144:145], v[204:205], s[26:27], -v[180:181]
	v_add_f64 v[180:181], v[126:127], v[162:163]
	v_add_f64 v[170:171], v[130:131], v[170:171]
	v_mul_f64 v[130:131], v[196:197], s[22:23]
	v_fma_f64 v[126:127], v[208:209], s[40:41], v[124:125]
	v_fma_f64 v[150:151], v[210:211], s[42:43], v[128:129]
	;; [unrolled: 1-line block ×3, first 2 shown]
	v_add_f64 v[212:213], v[146:147], v[134:135]
	v_fma_f64 v[134:135], v[210:211], s[24:25], v[154:155]
	v_mul_f64 v[158:159], v[206:207], s[34:35]
	v_add_f64 v[204:205], v[144:145], v[132:133]
	v_fma_f64 v[124:125], v[208:209], s[40:41], -v[124:125]
	v_fma_f64 v[132:133], v[208:209], s[20:21], v[130:131]
	v_add_f64 v[144:145], v[126:127], v[186:187]
	v_mul_f64 v[156:157], v[196:197], s[30:31]
	v_add_f64 v[126:127], v[128:129], v[160:161]
	v_fma_f64 v[128:129], v[208:209], s[20:21], -v[130:131]
	v_mul_f64 v[160:161], v[196:197], s[18:19]
	v_add_f64 v[146:147], v[150:151], v[188:189]
	v_add_f64 v[150:151], v[134:135], v[200:201]
	v_fma_f64 v[130:131], v[210:211], s[22:23], v[154:155]
	v_fma_f64 v[134:135], v[210:211], s[36:37], v[158:159]
	v_mul_f64 v[162:163], v[206:207], s[14:15]
	v_fma_f64 v[158:159], v[210:211], s[30:31], v[158:159]
	v_add_f64 v[124:125], v[124:125], v[148:149]
	v_add_f64 v[148:149], v[132:133], v[184:185]
	v_fma_f64 v[132:133], v[208:209], s[34:35], v[156:157]
	v_fma_f64 v[156:157], v[208:209], s[34:35], -v[156:157]
	v_add_f64 v[128:129], v[128:129], v[136:137]
	v_fma_f64 v[136:137], v[208:209], s[14:15], v[160:161]
	v_add_f64 v[130:131], v[130:131], v[138:139]
	v_add_f64 v[154:155], v[134:135], v[164:165]
	v_fma_f64 v[138:139], v[210:211], s[12:13], v[162:163]
	v_add_f64 v[134:135], v[158:159], v[168:169]
	v_fma_f64 v[160:161], v[208:209], s[14:15], -v[160:161]
	v_fma_f64 v[162:163], v[210:211], s[18:19], v[162:163]
	v_mul_f64 v[164:165], v[196:197], s[16:17]
	v_mul_f64 v[168:169], v[206:207], s[26:27]
	v_add_f64 v[152:153], v[132:133], v[152:153]
	v_add_f64 v[132:133], v[156:157], v[194:195]
	;; [unrolled: 1-line block ×3, first 2 shown]
	v_mul_f64 v[182:183], v[196:197], s[6:7]
	v_mul_f64 v[184:185], v[206:207], s[4:5]
	v_add_f64 v[158:159], v[138:139], v[190:191]
	v_add_f64 v[136:137], v[160:161], v[140:141]
	;; [unrolled: 1-line block ×3, first 2 shown]
	v_fma_f64 v[140:141], v[208:209], s[26:27], v[164:165]
	v_fma_f64 v[162:163], v[210:211], s[28:29], v[168:169]
	v_fma_f64 v[164:165], v[208:209], s[26:27], -v[164:165]
	v_fma_f64 v[186:187], v[208:209], s[4:5], v[182:183]
	v_fma_f64 v[188:189], v[210:211], s[0:1], v[184:185]
	;; [unrolled: 1-line block ×3, first 2 shown]
	v_fma_f64 v[182:183], v[208:209], s[4:5], -v[182:183]
	v_fma_f64 v[184:185], v[210:211], s[6:7], v[184:185]
	v_add_f64 v[160:161], v[140:141], v[198:199]
	v_add_f64 v[162:163], v[162:163], v[166:167]
	;; [unrolled: 1-line block ×8, first 2 shown]
	s_waitcnt lgkmcnt(0)
	; wave barrier
	ds_write_b128 v179, v[120:123]
	ds_write_b128 v179, v[144:147] offset:16
	ds_write_b128 v179, v[148:151] offset:32
	;; [unrolled: 1-line block ×12, first 2 shown]
	s_waitcnt lgkmcnt(0)
	; wave barrier
	s_waitcnt lgkmcnt(0)
	ds_read_b128 v[120:123], v177
	ds_read_b128 v[168:171], v176 offset:208
	ds_read_b128 v[164:167], v176 offset:416
	;; [unrolled: 1-line block ×7, first 2 shown]
	s_and_saveexec_b64 s[0:1], vcc
	s_cbranch_execz .LBB0_7
; %bb.6:
	ds_read_b128 v[136:139], v176 offset:336
	ds_read_b128 v[132:135], v176 offset:544
	ds_read_b128 v[128:131], v176 offset:752
	ds_read_b128 v[124:127], v176 offset:960
	ds_read_b128 v[108:111], v176 offset:1168
	ds_read_b128 v[112:115], v176 offset:1376
	ds_read_b128 v[140:143], v173 offset:128
	ds_read_b128 v[116:119], v176 offset:1584
.LBB0_7:
	s_or_b64 exec, exec, s[0:1]
	s_waitcnt lgkmcnt(6)
	v_mul_f64 v[178:179], v[106:107], v[170:171]
	v_mul_f64 v[106:107], v[106:107], v[168:169]
	s_waitcnt lgkmcnt(5)
	v_mul_f64 v[180:181], v[102:103], v[166:167]
	v_mul_f64 v[102:103], v[102:103], v[164:165]
	;; [unrolled: 3-line block ×3, first 2 shown]
	s_mov_b32 s0, 0x667f3bcd
	s_mov_b32 s1, 0xbfe6a09e
	v_fma_f64 v[168:169], v[104:105], v[168:169], v[178:179]
	v_fma_f64 v[104:105], v[104:105], v[170:171], -v[106:107]
	v_fma_f64 v[106:107], v[100:101], v[164:165], v[180:181]
	v_fma_f64 v[100:101], v[100:101], v[166:167], -v[102:103]
	;; [unrolled: 2-line block ×3, first 2 shown]
	s_waitcnt lgkmcnt(3)
	v_mul_f64 v[98:99], v[90:91], v[154:155]
	v_mul_f64 v[90:91], v[90:91], v[152:153]
	s_waitcnt lgkmcnt(1)
	v_mul_f64 v[160:161], v[94:95], v[158:159]
	v_mul_f64 v[94:95], v[94:95], v[156:157]
	;; [unrolled: 1-line block ×4, first 2 shown]
	s_waitcnt lgkmcnt(0)
	v_mul_f64 v[164:165], v[82:83], v[150:151]
	v_mul_f64 v[82:83], v[82:83], v[148:149]
	v_fma_f64 v[98:99], v[88:89], v[152:153], v[98:99]
	v_fma_f64 v[88:89], v[88:89], v[154:155], -v[90:91]
	v_fma_f64 v[90:91], v[92:93], v[156:157], v[160:161]
	v_fma_f64 v[92:93], v[92:93], v[158:159], -v[94:95]
	;; [unrolled: 2-line block ×4, first 2 shown]
	v_add_f64 v[82:83], v[120:121], -v[98:99]
	v_add_f64 v[88:89], v[122:123], -v[88:89]
	;; [unrolled: 1-line block ×8, first 2 shown]
	v_fma_f64 v[98:99], v[120:121], 2.0, -v[82:83]
	v_fma_f64 v[120:121], v[122:123], 2.0, -v[88:89]
	;; [unrolled: 1-line block ×8, first 2 shown]
	v_add_f64 v[144:145], v[82:83], v[92:93]
	v_add_f64 v[146:147], v[88:89], -v[90:91]
	v_add_f64 v[148:149], v[94:95], v[80:81]
	v_add_f64 v[92:93], v[84:85], -v[86:87]
	v_add_f64 v[106:107], v[98:99], -v[106:107]
	;; [unrolled: 1-line block ×5, first 2 shown]
	v_fma_f64 v[100:101], v[82:83], 2.0, -v[144:145]
	v_fma_f64 v[102:103], v[88:89], 2.0, -v[146:147]
	;; [unrolled: 1-line block ×8, first 2 shown]
	s_mov_b32 s5, 0x3fe6a09e
	s_mov_b32 s4, s0
	v_fma_f64 v[88:89], v[86:87], s[0:1], v[100:101]
	v_fma_f64 v[94:95], v[84:85], s[0:1], v[102:103]
	;; [unrolled: 1-line block ×4, first 2 shown]
	v_add_f64 v[80:81], v[98:99], -v[80:81]
	v_add_f64 v[82:83], v[120:121], -v[82:83]
	;; [unrolled: 1-line block ×3, first 2 shown]
	v_fma_f64 v[84:85], v[84:85], s[4:5], v[88:89]
	v_fma_f64 v[86:87], v[86:87], s[0:1], v[94:95]
	v_add_f64 v[88:89], v[106:107], v[96:97]
	v_fma_f64 v[92:93], v[92:93], s[4:5], v[104:105]
	v_fma_f64 v[94:95], v[148:149], s[0:1], v[122:123]
	v_fma_f64 v[96:97], v[98:99], 2.0, -v[80:81]
	v_fma_f64 v[98:99], v[120:121], 2.0, -v[82:83]
	;; [unrolled: 1-line block ×8, first 2 shown]
	ds_write_b128 v177, v[96:99]
	ds_write_b128 v176, v[100:103] offset:208
	ds_write_b128 v176, v[104:107] offset:416
	;; [unrolled: 1-line block ×7, first 2 shown]
	s_and_saveexec_b64 s[6:7], vcc
	s_cbranch_execz .LBB0_9
; %bb.8:
	v_mul_f64 v[80:81], v[58:59], v[124:125]
	v_mul_f64 v[82:83], v[62:63], v[134:135]
	v_mul_f64 v[84:85], v[74:75], v[114:115]
	v_mul_f64 v[86:87], v[78:79], v[136:137]
	v_mul_f64 v[88:89], v[70:71], v[108:109]
	v_mul_f64 v[90:91], v[54:55], v[130:131]
	v_mul_f64 v[92:93], v[66:67], v[118:119]
	v_mul_f64 v[78:79], v[78:79], v[138:139]
	v_mul_f64 v[62:63], v[62:63], v[132:133]
	v_mul_f64 v[74:75], v[74:75], v[112:113]
	v_mul_f64 v[70:71], v[70:71], v[110:111]
	v_mul_f64 v[58:59], v[58:59], v[126:127]
	v_mul_f64 v[54:55], v[54:55], v[128:129]
	v_mul_f64 v[66:67], v[66:67], v[116:117]
	v_fma_f64 v[80:81], v[56:57], v[126:127], -v[80:81]
	v_fma_f64 v[82:83], v[60:61], v[132:133], v[82:83]
	v_fma_f64 v[84:85], v[72:73], v[112:113], v[84:85]
	v_fma_f64 v[86:87], v[76:77], v[138:139], -v[86:87]
	v_fma_f64 v[88:89], v[68:69], v[110:111], -v[88:89]
	v_fma_f64 v[90:91], v[52:53], v[128:129], v[90:91]
	v_fma_f64 v[92:93], v[64:65], v[116:117], v[92:93]
	v_fma_f64 v[76:77], v[76:77], v[136:137], v[78:79]
	v_fma_f64 v[60:61], v[60:61], v[134:135], -v[62:63]
	v_fma_f64 v[62:63], v[72:73], v[114:115], -v[74:75]
	v_fma_f64 v[68:69], v[68:69], v[108:109], v[70:71]
	v_fma_f64 v[56:57], v[56:57], v[124:125], v[58:59]
	v_fma_f64 v[52:53], v[52:53], v[130:131], -v[54:55]
	v_fma_f64 v[54:55], v[64:65], v[118:119], -v[66:67]
	v_add_f64 v[80:81], v[142:143], -v[80:81]
	v_add_f64 v[84:85], v[82:83], -v[84:85]
	;; [unrolled: 1-line block ×8, first 2 shown]
	v_fma_f64 v[66:67], v[142:143], 2.0, -v[80:81]
	v_add_f64 v[68:69], v[80:81], -v[84:85]
	v_fma_f64 v[78:79], v[86:87], 2.0, -v[70:71]
	v_add_f64 v[72:73], v[70:71], -v[58:59]
	v_fma_f64 v[60:61], v[60:61], 2.0, -v[62:63]
	v_fma_f64 v[74:75], v[76:77], 2.0, -v[64:65]
	v_fma_f64 v[58:59], v[90:91], 2.0, -v[58:59]
	v_fma_f64 v[76:77], v[140:141], 2.0, -v[56:57]
	v_fma_f64 v[52:53], v[52:53], 2.0, -v[54:55]
	v_fma_f64 v[82:83], v[82:83], 2.0, -v[84:85]
	v_add_f64 v[54:55], v[54:55], v[64:65]
	v_add_f64 v[84:85], v[62:63], v[56:57]
	v_add_f64 v[86:87], v[66:67], -v[60:61]
	v_fma_f64 v[80:81], v[80:81], 2.0, -v[68:69]
	v_fma_f64 v[60:61], v[70:71], 2.0, -v[72:73]
	v_add_f64 v[58:59], v[74:75], -v[58:59]
	v_add_f64 v[52:53], v[78:79], -v[52:53]
	;; [unrolled: 1-line block ×3, first 2 shown]
	v_fma_f64 v[62:63], v[64:65], 2.0, -v[54:55]
	v_fma_f64 v[90:91], v[56:57], 2.0, -v[84:85]
	;; [unrolled: 1-line block ×3, first 2 shown]
	v_fma_f64 v[56:57], v[72:73], s[4:5], v[68:69]
	v_fma_f64 v[64:65], v[60:61], s[0:1], v[80:81]
	v_fma_f64 v[70:71], v[74:75], 2.0, -v[58:59]
	v_fma_f64 v[66:67], v[78:79], 2.0, -v[52:53]
	;; [unrolled: 1-line block ×3, first 2 shown]
	v_fma_f64 v[78:79], v[54:55], s[4:5], v[84:85]
	v_fma_f64 v[74:75], v[62:63], s[0:1], v[90:91]
	v_add_f64 v[58:59], v[86:87], -v[58:59]
	v_fma_f64 v[54:55], v[54:55], s[0:1], v[56:57]
	v_fma_f64 v[62:63], v[62:63], s[0:1], v[64:65]
	v_add_f64 v[56:57], v[88:89], v[52:53]
	v_add_f64 v[66:67], v[82:83], -v[66:67]
	v_add_f64 v[64:65], v[76:77], -v[70:71]
	v_fma_f64 v[52:53], v[72:73], s[4:5], v[78:79]
	v_fma_f64 v[60:61], v[60:61], s[4:5], v[74:75]
	v_fma_f64 v[74:75], v[86:87], 2.0, -v[58:59]
	v_fma_f64 v[70:71], v[68:69], 2.0, -v[54:55]
	;; [unrolled: 1-line block ×8, first 2 shown]
	ds_write_b128 v173, v[80:83] offset:128
	ds_write_b128 v176, v[76:79] offset:336
	;; [unrolled: 1-line block ×8, first 2 shown]
.LBB0_9:
	s_or_b64 exec, exec, s[6:7]
	s_waitcnt lgkmcnt(0)
	; wave barrier
	s_waitcnt lgkmcnt(0)
	ds_read_b128 v[52:55], v177
	ds_read_b128 v[56:59], v176 offset:256
	v_mad_u64_u32 v[60:61], s[0:1], s10, v172, 0
	v_mov_b32_e32 v66, s3
	s_waitcnt lgkmcnt(1)
	v_mul_f64 v[62:63], v[34:35], v[54:55]
	v_mul_f64 v[34:35], v[34:35], v[52:53]
	v_mad_u64_u32 v[64:65], s[0:1], s11, v172, v[61:62]
	v_fma_f64 v[52:53], v[32:33], v[52:53], v[62:63]
	v_mad_u64_u32 v[62:63], s[0:1], s8, v175, 0
	v_fma_f64 v[54:55], v[32:33], v[54:55], -v[34:35]
	v_mov_b32_e32 v61, v64
	v_mov_b32_e32 v32, v63
	v_mad_u64_u32 v[63:64], s[4:5], s9, v175, v[32:33]
	v_lshlrev_b64 v[60:61], 4, v[60:61]
	s_mov_b32 s0, 0x13b13b14
	s_mov_b32 s1, 0x3f83b13b
	v_add_co_u32_e32 v67, vcc, s2, v60
	v_mul_f64 v[52:53], v[52:53], s[0:1]
	v_mul_f64 v[54:55], v[54:55], s[0:1]
	v_addc_co_u32_e32 v66, vcc, v66, v61, vcc
	v_lshlrev_b64 v[60:61], 4, v[62:63]
	s_waitcnt lgkmcnt(0)
	v_mul_f64 v[62:63], v[46:47], v[58:59]
	v_mul_f64 v[46:47], v[46:47], v[56:57]
	ds_read_b128 v[32:35], v173 offset:128
	v_add_co_u32_e32 v60, vcc, v67, v60
	v_addc_co_u32_e32 v61, vcc, v66, v61, vcc
	global_store_dwordx4 v[60:61], v[52:55], off
	s_lshl_b64 s[2:3], s[8:9], 7
	v_fma_f64 v[52:53], v[44:45], v[56:57], v[62:63]
	v_fma_f64 v[54:55], v[44:45], v[58:59], -v[46:47]
	ds_read_b128 v[44:47], v176 offset:512
	s_waitcnt lgkmcnt(1)
	v_mul_f64 v[64:65], v[26:27], v[34:35]
	v_mul_f64 v[26:27], v[26:27], v[32:33]
	v_add_co_u32_e32 v58, vcc, s2, v60
	v_fma_f64 v[32:33], v[24:25], v[32:33], v[64:65]
	v_fma_f64 v[26:27], v[24:25], v[34:35], -v[26:27]
	v_mov_b32_e32 v64, s3
	v_addc_co_u32_e32 v59, vcc, v61, v64, vcc
	v_mul_f64 v[24:25], v[32:33], s[0:1]
	ds_read_b128 v[32:35], v176 offset:384
	v_mul_f64 v[26:27], v[26:27], s[0:1]
	s_waitcnt lgkmcnt(0)
	v_mul_f64 v[56:57], v[30:31], v[34:35]
	v_mul_f64 v[30:31], v[30:31], v[32:33]
	global_store_dwordx4 v[58:59], v[24:27], off
	s_nop 0
	v_mul_f64 v[24:25], v[52:53], s[0:1]
	v_mul_f64 v[26:27], v[54:55], s[0:1]
	;; [unrolled: 1-line block ×3, first 2 shown]
	v_fma_f64 v[32:33], v[28:29], v[32:33], v[56:57]
	v_fma_f64 v[34:35], v[28:29], v[34:35], -v[30:31]
	v_mul_f64 v[50:51], v[50:51], v[44:45]
	ds_read_b128 v[28:31], v176 offset:640
	v_add_co_u32_e32 v54, vcc, s2, v58
	v_addc_co_u32_e32 v55, vcc, v59, v64, vcc
	global_store_dwordx4 v[54:55], v[24:27], off
	v_fma_f64 v[44:45], v[48:49], v[44:45], v[52:53]
	v_mul_f64 v[24:25], v[32:33], s[0:1]
	v_mul_f64 v[26:27], v[34:35], s[0:1]
	ds_read_b128 v[32:35], v176 offset:768
	v_fma_f64 v[46:47], v[48:49], v[46:47], -v[50:51]
	s_waitcnt lgkmcnt(1)
	v_mul_f64 v[48:49], v[22:23], v[30:31]
	v_mul_f64 v[50:51], v[22:23], v[28:29]
	v_add_co_u32_e32 v52, vcc, s2, v54
	v_addc_co_u32_e32 v53, vcc, v55, v64, vcc
	global_store_dwordx4 v[52:53], v[24:27], off
	v_mul_f64 v[22:23], v[44:45], s[0:1]
	v_mul_f64 v[24:25], v[46:47], s[0:1]
	v_fma_f64 v[26:27], v[20:21], v[28:29], v[48:49]
	v_fma_f64 v[28:29], v[20:21], v[30:31], -v[50:51]
	s_waitcnt lgkmcnt(0)
	v_mul_f64 v[30:31], v[42:43], v[34:35]
	v_mul_f64 v[42:43], v[42:43], v[32:33]
	v_add_co_u32_e32 v44, vcc, s2, v52
	v_addc_co_u32_e32 v45, vcc, v53, v64, vcc
	global_store_dwordx4 v[44:45], v[22:25], off
	v_mul_f64 v[20:21], v[26:27], s[0:1]
	ds_read_b128 v[24:27], v176 offset:896
	v_mul_f64 v[22:23], v[28:29], s[0:1]
	v_fma_f64 v[32:33], v[40:41], v[32:33], v[30:31]
	ds_read_b128 v[28:31], v176 offset:1024
	v_fma_f64 v[34:35], v[40:41], v[34:35], -v[42:43]
	s_waitcnt lgkmcnt(1)
	v_mul_f64 v[40:41], v[14:15], v[26:27]
	v_mul_f64 v[14:15], v[14:15], v[24:25]
	v_add_co_u32_e32 v42, vcc, s2, v44
	v_addc_co_u32_e32 v43, vcc, v45, v64, vcc
	global_store_dwordx4 v[42:43], v[20:23], off
	v_fma_f64 v[24:25], v[12:13], v[24:25], v[40:41]
	v_mul_f64 v[20:21], v[32:33], s[0:1]
	v_mul_f64 v[22:23], v[34:35], s[0:1]
	v_fma_f64 v[14:15], v[12:13], v[26:27], -v[14:15]
	s_waitcnt lgkmcnt(0)
	v_mul_f64 v[26:27], v[38:39], v[30:31]
	v_mul_f64 v[32:33], v[38:39], v[28:29]
	v_add_co_u32_e32 v34, vcc, s2, v42
	v_addc_co_u32_e32 v35, vcc, v43, v64, vcc
	global_store_dwordx4 v[34:35], v[20:23], off
	ds_read_b128 v[20:23], v176 offset:1152
	v_mul_f64 v[12:13], v[24:25], s[0:1]
	v_mul_f64 v[14:15], v[14:15], s[0:1]
	v_fma_f64 v[28:29], v[36:37], v[28:29], v[26:27]
	ds_read_b128 v[24:27], v176 offset:1280
	v_fma_f64 v[30:31], v[36:37], v[30:31], -v[32:33]
	s_waitcnt lgkmcnt(1)
	v_mul_f64 v[32:33], v[6:7], v[22:23]
	v_mul_f64 v[6:7], v[6:7], v[20:21]
	v_add_co_u32_e32 v34, vcc, s2, v34
	v_addc_co_u32_e32 v35, vcc, v35, v64, vcc
	global_store_dwordx4 v[34:35], v[12:15], off
	v_fma_f64 v[20:21], v[4:5], v[20:21], v[32:33]
	v_mul_f64 v[12:13], v[28:29], s[0:1]
	v_mul_f64 v[14:15], v[30:31], s[0:1]
	v_fma_f64 v[6:7], v[4:5], v[22:23], -v[6:7]
	s_waitcnt lgkmcnt(0)
	v_mul_f64 v[28:29], v[10:11], v[26:27]
	v_mul_f64 v[30:31], v[10:11], v[24:25]
	v_add_co_u32_e32 v32, vcc, s2, v34
	v_addc_co_u32_e32 v33, vcc, v35, v64, vcc
	global_store_dwordx4 v[32:33], v[12:15], off
	ds_read_b128 v[10:13], v176 offset:1408
	v_mul_f64 v[4:5], v[20:21], s[0:1]
	ds_read_b128 v[20:23], v176 offset:1536
	v_mul_f64 v[6:7], v[6:7], s[0:1]
	v_fma_f64 v[14:15], v[8:9], v[24:25], v[28:29]
	v_fma_f64 v[8:9], v[8:9], v[26:27], -v[30:31]
	s_waitcnt lgkmcnt(1)
	v_mul_f64 v[24:25], v[2:3], v[12:13]
	v_mul_f64 v[26:27], v[2:3], v[10:11]
	s_waitcnt lgkmcnt(0)
	v_mul_f64 v[28:29], v[18:19], v[22:23]
	v_mul_f64 v[18:19], v[18:19], v[20:21]
	v_add_co_u32_e32 v30, vcc, s2, v32
	v_addc_co_u32_e32 v31, vcc, v33, v64, vcc
	global_store_dwordx4 v[30:31], v[4:7], off
	v_mul_f64 v[2:3], v[14:15], s[0:1]
	v_fma_f64 v[6:7], v[0:1], v[10:11], v[24:25]
	v_fma_f64 v[0:1], v[0:1], v[12:13], -v[26:27]
	v_mul_f64 v[4:5], v[8:9], s[0:1]
	v_fma_f64 v[10:11], v[16:17], v[20:21], v[28:29]
	v_fma_f64 v[12:13], v[16:17], v[22:23], -v[18:19]
	v_add_co_u32_e32 v14, vcc, s2, v30
	v_addc_co_u32_e32 v15, vcc, v31, v64, vcc
	v_mul_f64 v[6:7], v[6:7], s[0:1]
	v_mul_f64 v[8:9], v[0:1], s[0:1]
	global_store_dwordx4 v[14:15], v[2:5], off
	v_mul_f64 v[0:1], v[10:11], s[0:1]
	v_mul_f64 v[2:3], v[12:13], s[0:1]
	v_add_co_u32_e32 v4, vcc, s2, v14
	v_addc_co_u32_e32 v5, vcc, v15, v64, vcc
	global_store_dwordx4 v[4:5], v[6:9], off
	v_add_co_u32_e32 v4, vcc, s2, v4
	v_addc_co_u32_e32 v5, vcc, v5, v64, vcc
	global_store_dwordx4 v[4:5], v[0:3], off
.LBB0_10:
	s_endpgm
	.section	.rodata,"a",@progbits
	.p2align	6, 0x0
	.amdhsa_kernel bluestein_single_back_len104_dim1_dp_op_CI_CI
		.amdhsa_group_segment_fixed_size 13312
		.amdhsa_private_segment_fixed_size 0
		.amdhsa_kernarg_size 104
		.amdhsa_user_sgpr_count 6
		.amdhsa_user_sgpr_private_segment_buffer 1
		.amdhsa_user_sgpr_dispatch_ptr 0
		.amdhsa_user_sgpr_queue_ptr 0
		.amdhsa_user_sgpr_kernarg_segment_ptr 1
		.amdhsa_user_sgpr_dispatch_id 0
		.amdhsa_user_sgpr_flat_scratch_init 0
		.amdhsa_user_sgpr_private_segment_size 0
		.amdhsa_uses_dynamic_stack 0
		.amdhsa_system_sgpr_private_segment_wavefront_offset 0
		.amdhsa_system_sgpr_workgroup_id_x 1
		.amdhsa_system_sgpr_workgroup_id_y 0
		.amdhsa_system_sgpr_workgroup_id_z 0
		.amdhsa_system_sgpr_workgroup_info 0
		.amdhsa_system_vgpr_workitem_id 0
		.amdhsa_next_free_vgpr 250
		.amdhsa_next_free_sgpr 44
		.amdhsa_reserve_vcc 1
		.amdhsa_reserve_flat_scratch 0
		.amdhsa_float_round_mode_32 0
		.amdhsa_float_round_mode_16_64 0
		.amdhsa_float_denorm_mode_32 3
		.amdhsa_float_denorm_mode_16_64 3
		.amdhsa_dx10_clamp 1
		.amdhsa_ieee_mode 1
		.amdhsa_fp16_overflow 0
		.amdhsa_exception_fp_ieee_invalid_op 0
		.amdhsa_exception_fp_denorm_src 0
		.amdhsa_exception_fp_ieee_div_zero 0
		.amdhsa_exception_fp_ieee_overflow 0
		.amdhsa_exception_fp_ieee_underflow 0
		.amdhsa_exception_fp_ieee_inexact 0
		.amdhsa_exception_int_div_zero 0
	.end_amdhsa_kernel
	.text
.Lfunc_end0:
	.size	bluestein_single_back_len104_dim1_dp_op_CI_CI, .Lfunc_end0-bluestein_single_back_len104_dim1_dp_op_CI_CI
                                        ; -- End function
	.section	.AMDGPU.csdata,"",@progbits
; Kernel info:
; codeLenInByte = 14028
; NumSgprs: 48
; NumVgprs: 250
; ScratchSize: 0
; MemoryBound: 0
; FloatMode: 240
; IeeeMode: 1
; LDSByteSize: 13312 bytes/workgroup (compile time only)
; SGPRBlocks: 5
; VGPRBlocks: 62
; NumSGPRsForWavesPerEU: 48
; NumVGPRsForWavesPerEU: 250
; Occupancy: 1
; WaveLimiterHint : 1
; COMPUTE_PGM_RSRC2:SCRATCH_EN: 0
; COMPUTE_PGM_RSRC2:USER_SGPR: 6
; COMPUTE_PGM_RSRC2:TRAP_HANDLER: 0
; COMPUTE_PGM_RSRC2:TGID_X_EN: 1
; COMPUTE_PGM_RSRC2:TGID_Y_EN: 0
; COMPUTE_PGM_RSRC2:TGID_Z_EN: 0
; COMPUTE_PGM_RSRC2:TIDIG_COMP_CNT: 0
	.type	__hip_cuid_5c7dd2797a16c2da,@object ; @__hip_cuid_5c7dd2797a16c2da
	.section	.bss,"aw",@nobits
	.globl	__hip_cuid_5c7dd2797a16c2da
__hip_cuid_5c7dd2797a16c2da:
	.byte	0                               ; 0x0
	.size	__hip_cuid_5c7dd2797a16c2da, 1

	.ident	"AMD clang version 19.0.0git (https://github.com/RadeonOpenCompute/llvm-project roc-6.4.0 25133 c7fe45cf4b819c5991fe208aaa96edf142730f1d)"
	.section	".note.GNU-stack","",@progbits
	.addrsig
	.addrsig_sym __hip_cuid_5c7dd2797a16c2da
	.amdgpu_metadata
---
amdhsa.kernels:
  - .args:
      - .actual_access:  read_only
        .address_space:  global
        .offset:         0
        .size:           8
        .value_kind:     global_buffer
      - .actual_access:  read_only
        .address_space:  global
        .offset:         8
        .size:           8
        .value_kind:     global_buffer
      - .actual_access:  read_only
        .address_space:  global
        .offset:         16
        .size:           8
        .value_kind:     global_buffer
      - .actual_access:  read_only
        .address_space:  global
        .offset:         24
        .size:           8
        .value_kind:     global_buffer
      - .actual_access:  read_only
        .address_space:  global
        .offset:         32
        .size:           8
        .value_kind:     global_buffer
      - .offset:         40
        .size:           8
        .value_kind:     by_value
      - .address_space:  global
        .offset:         48
        .size:           8
        .value_kind:     global_buffer
      - .address_space:  global
        .offset:         56
        .size:           8
        .value_kind:     global_buffer
      - .address_space:  global
        .offset:         64
        .size:           8
        .value_kind:     global_buffer
      - .address_space:  global
        .offset:         72
        .size:           8
        .value_kind:     global_buffer
      - .offset:         80
        .size:           4
        .value_kind:     by_value
      - .address_space:  global
        .offset:         88
        .size:           8
        .value_kind:     global_buffer
      - .address_space:  global
        .offset:         96
        .size:           8
        .value_kind:     global_buffer
    .group_segment_fixed_size: 13312
    .kernarg_segment_align: 8
    .kernarg_segment_size: 104
    .language:       OpenCL C
    .language_version:
      - 2
      - 0
    .max_flat_workgroup_size: 64
    .name:           bluestein_single_back_len104_dim1_dp_op_CI_CI
    .private_segment_fixed_size: 0
    .sgpr_count:     48
    .sgpr_spill_count: 0
    .symbol:         bluestein_single_back_len104_dim1_dp_op_CI_CI.kd
    .uniform_work_group_size: 1
    .uses_dynamic_stack: false
    .vgpr_count:     250
    .vgpr_spill_count: 0
    .wavefront_size: 64
amdhsa.target:   amdgcn-amd-amdhsa--gfx906
amdhsa.version:
  - 1
  - 2
...

	.end_amdgpu_metadata
